;; amdgpu-corpus repo=ROCm/rocFFT kind=compiled arch=gfx1030 opt=O3
	.text
	.amdgcn_target "amdgcn-amd-amdhsa--gfx1030"
	.amdhsa_code_object_version 6
	.protected	fft_rtc_fwd_len238_factors_17_7_2_wgs_51_tpt_17_halfLds_dp_ip_CI_unitstride_sbrr_R2C_dirReg ; -- Begin function fft_rtc_fwd_len238_factors_17_7_2_wgs_51_tpt_17_halfLds_dp_ip_CI_unitstride_sbrr_R2C_dirReg
	.globl	fft_rtc_fwd_len238_factors_17_7_2_wgs_51_tpt_17_halfLds_dp_ip_CI_unitstride_sbrr_R2C_dirReg
	.p2align	8
	.type	fft_rtc_fwd_len238_factors_17_7_2_wgs_51_tpt_17_halfLds_dp_ip_CI_unitstride_sbrr_R2C_dirReg,@function
fft_rtc_fwd_len238_factors_17_7_2_wgs_51_tpt_17_halfLds_dp_ip_CI_unitstride_sbrr_R2C_dirReg: ; @fft_rtc_fwd_len238_factors_17_7_2_wgs_51_tpt_17_halfLds_dp_ip_CI_unitstride_sbrr_R2C_dirReg
; %bb.0:
	s_load_dwordx4 s[8:11], s[4:5], 0x0
	v_mul_u32_u24_e32 v1, 0xf10, v0
	s_clause 0x1
	s_load_dwordx2 s[2:3], s[4:5], 0x50
	s_load_dwordx2 s[12:13], s[4:5], 0x18
	v_mov_b32_e32 v5, 0
	v_mov_b32_e32 v3, 0
	;; [unrolled: 1-line block ×3, first 2 shown]
	v_lshrrev_b32_e32 v1, 16, v1
	v_mad_u64_u32 v[1:2], null, s6, 3, v[1:2]
	v_mov_b32_e32 v2, v5
	v_mov_b32_e32 v10, v2
	;; [unrolled: 1-line block ×3, first 2 shown]
	s_waitcnt lgkmcnt(0)
	v_cmp_lt_u64_e64 s0, s[10:11], 2
	s_and_b32 vcc_lo, exec_lo, s0
	s_cbranch_vccnz .LBB0_8
; %bb.1:
	s_load_dwordx2 s[0:1], s[4:5], 0x10
	v_mov_b32_e32 v3, 0
	v_mov_b32_e32 v8, v2
	s_add_u32 s6, s12, 8
	v_mov_b32_e32 v4, 0
	v_mov_b32_e32 v7, v1
	s_addc_u32 s7, s13, 0
	s_mov_b64 s[16:17], 1
	s_waitcnt lgkmcnt(0)
	s_add_u32 s14, s0, 8
	s_addc_u32 s15, s1, 0
.LBB0_2:                                ; =>This Inner Loop Header: Depth=1
	s_load_dwordx2 s[18:19], s[14:15], 0x0
                                        ; implicit-def: $vgpr9_vgpr10
	s_mov_b32 s0, exec_lo
	s_waitcnt lgkmcnt(0)
	v_or_b32_e32 v6, s19, v8
	v_cmpx_ne_u64_e32 0, v[5:6]
	s_xor_b32 s1, exec_lo, s0
	s_cbranch_execz .LBB0_4
; %bb.3:                                ;   in Loop: Header=BB0_2 Depth=1
	v_cvt_f32_u32_e32 v2, s18
	v_cvt_f32_u32_e32 v6, s19
	s_sub_u32 s0, 0, s18
	s_subb_u32 s20, 0, s19
	v_fmac_f32_e32 v2, 0x4f800000, v6
	v_rcp_f32_e32 v2, v2
	v_mul_f32_e32 v2, 0x5f7ffffc, v2
	v_mul_f32_e32 v6, 0x2f800000, v2
	v_trunc_f32_e32 v6, v6
	v_fmac_f32_e32 v2, 0xcf800000, v6
	v_cvt_u32_f32_e32 v6, v6
	v_cvt_u32_f32_e32 v2, v2
	v_mul_lo_u32 v9, s0, v6
	v_mul_hi_u32 v10, s0, v2
	v_mul_lo_u32 v11, s20, v2
	v_add_nc_u32_e32 v9, v10, v9
	v_mul_lo_u32 v10, s0, v2
	v_add_nc_u32_e32 v9, v9, v11
	v_mul_hi_u32 v11, v2, v10
	v_mul_lo_u32 v12, v2, v9
	v_mul_hi_u32 v13, v2, v9
	v_mul_hi_u32 v14, v6, v10
	v_mul_lo_u32 v10, v6, v10
	v_mul_hi_u32 v15, v6, v9
	v_mul_lo_u32 v9, v6, v9
	v_add_co_u32 v11, vcc_lo, v11, v12
	v_add_co_ci_u32_e32 v12, vcc_lo, 0, v13, vcc_lo
	v_add_co_u32 v10, vcc_lo, v11, v10
	v_add_co_ci_u32_e32 v10, vcc_lo, v12, v14, vcc_lo
	v_add_co_ci_u32_e32 v11, vcc_lo, 0, v15, vcc_lo
	v_add_co_u32 v9, vcc_lo, v10, v9
	v_add_co_ci_u32_e32 v10, vcc_lo, 0, v11, vcc_lo
	v_add_co_u32 v2, vcc_lo, v2, v9
	v_add_co_ci_u32_e32 v6, vcc_lo, v6, v10, vcc_lo
	v_mul_hi_u32 v9, s0, v2
	v_mul_lo_u32 v11, s20, v2
	v_mul_lo_u32 v10, s0, v6
	v_add_nc_u32_e32 v9, v9, v10
	v_mul_lo_u32 v10, s0, v2
	v_add_nc_u32_e32 v9, v9, v11
	v_mul_hi_u32 v11, v2, v10
	v_mul_lo_u32 v12, v2, v9
	v_mul_hi_u32 v13, v2, v9
	v_mul_hi_u32 v14, v6, v10
	v_mul_lo_u32 v10, v6, v10
	v_mul_hi_u32 v15, v6, v9
	v_mul_lo_u32 v9, v6, v9
	v_add_co_u32 v11, vcc_lo, v11, v12
	v_add_co_ci_u32_e32 v12, vcc_lo, 0, v13, vcc_lo
	v_add_co_u32 v10, vcc_lo, v11, v10
	v_add_co_ci_u32_e32 v10, vcc_lo, v12, v14, vcc_lo
	v_add_co_ci_u32_e32 v11, vcc_lo, 0, v15, vcc_lo
	v_add_co_u32 v9, vcc_lo, v10, v9
	v_add_co_ci_u32_e32 v10, vcc_lo, 0, v11, vcc_lo
	v_add_co_u32 v2, vcc_lo, v2, v9
	v_add_co_ci_u32_e32 v6, vcc_lo, v6, v10, vcc_lo
	v_mul_hi_u32 v15, v7, v2
	v_mad_u64_u32 v[11:12], null, v8, v2, 0
	v_mad_u64_u32 v[9:10], null, v7, v6, 0
	v_mad_u64_u32 v[13:14], null, v8, v6, 0
	v_add_co_u32 v2, vcc_lo, v15, v9
	v_add_co_ci_u32_e32 v6, vcc_lo, 0, v10, vcc_lo
	v_add_co_u32 v2, vcc_lo, v2, v11
	v_add_co_ci_u32_e32 v2, vcc_lo, v6, v12, vcc_lo
	v_add_co_ci_u32_e32 v6, vcc_lo, 0, v14, vcc_lo
	v_add_co_u32 v2, vcc_lo, v2, v13
	v_add_co_ci_u32_e32 v6, vcc_lo, 0, v6, vcc_lo
	v_mul_lo_u32 v11, s19, v2
	v_mad_u64_u32 v[9:10], null, s18, v2, 0
	v_mul_lo_u32 v12, s18, v6
	v_sub_co_u32 v9, vcc_lo, v7, v9
	v_add3_u32 v10, v10, v12, v11
	v_sub_nc_u32_e32 v11, v8, v10
	v_subrev_co_ci_u32_e64 v11, s0, s19, v11, vcc_lo
	v_add_co_u32 v12, s0, v2, 2
	v_add_co_ci_u32_e64 v13, s0, 0, v6, s0
	v_sub_co_u32 v14, s0, v9, s18
	v_sub_co_ci_u32_e32 v10, vcc_lo, v8, v10, vcc_lo
	v_subrev_co_ci_u32_e64 v11, s0, 0, v11, s0
	v_cmp_le_u32_e32 vcc_lo, s18, v14
	v_cmp_eq_u32_e64 s0, s19, v10
	v_cndmask_b32_e64 v14, 0, -1, vcc_lo
	v_cmp_le_u32_e32 vcc_lo, s19, v11
	v_cndmask_b32_e64 v15, 0, -1, vcc_lo
	v_cmp_le_u32_e32 vcc_lo, s18, v9
	;; [unrolled: 2-line block ×3, first 2 shown]
	v_cndmask_b32_e64 v16, 0, -1, vcc_lo
	v_cmp_eq_u32_e32 vcc_lo, s19, v11
	v_cndmask_b32_e64 v9, v16, v9, s0
	v_cndmask_b32_e32 v11, v15, v14, vcc_lo
	v_add_co_u32 v14, vcc_lo, v2, 1
	v_add_co_ci_u32_e32 v15, vcc_lo, 0, v6, vcc_lo
	v_cmp_ne_u32_e32 vcc_lo, 0, v11
	v_cndmask_b32_e32 v10, v15, v13, vcc_lo
	v_cndmask_b32_e32 v11, v14, v12, vcc_lo
	v_cmp_ne_u32_e32 vcc_lo, 0, v9
	v_cndmask_b32_e32 v10, v6, v10, vcc_lo
	v_cndmask_b32_e32 v9, v2, v11, vcc_lo
.LBB0_4:                                ;   in Loop: Header=BB0_2 Depth=1
	s_andn2_saveexec_b32 s0, s1
	s_cbranch_execz .LBB0_6
; %bb.5:                                ;   in Loop: Header=BB0_2 Depth=1
	v_cvt_f32_u32_e32 v2, s18
	s_sub_i32 s1, 0, s18
	v_rcp_iflag_f32_e32 v2, v2
	v_mul_f32_e32 v2, 0x4f7ffffe, v2
	v_cvt_u32_f32_e32 v2, v2
	v_mul_lo_u32 v6, s1, v2
	v_mul_hi_u32 v6, v2, v6
	v_add_nc_u32_e32 v2, v2, v6
	v_mul_hi_u32 v2, v7, v2
	v_mul_lo_u32 v6, v2, s18
	v_add_nc_u32_e32 v9, 1, v2
	v_sub_nc_u32_e32 v6, v7, v6
	v_subrev_nc_u32_e32 v10, s18, v6
	v_cmp_le_u32_e32 vcc_lo, s18, v6
	v_cndmask_b32_e32 v6, v6, v10, vcc_lo
	v_cndmask_b32_e32 v2, v2, v9, vcc_lo
	v_mov_b32_e32 v10, v5
	v_cmp_le_u32_e32 vcc_lo, s18, v6
	v_add_nc_u32_e32 v9, 1, v2
	v_cndmask_b32_e32 v9, v2, v9, vcc_lo
.LBB0_6:                                ;   in Loop: Header=BB0_2 Depth=1
	s_or_b32 exec_lo, exec_lo, s0
	s_load_dwordx2 s[0:1], s[6:7], 0x0
	v_mul_lo_u32 v2, v10, s18
	v_mul_lo_u32 v6, v9, s19
	v_mad_u64_u32 v[11:12], null, v9, s18, 0
	s_add_u32 s16, s16, 1
	s_addc_u32 s17, s17, 0
	s_add_u32 s6, s6, 8
	s_addc_u32 s7, s7, 0
	;; [unrolled: 2-line block ×3, first 2 shown]
	v_add3_u32 v2, v12, v6, v2
	v_sub_co_u32 v6, vcc_lo, v7, v11
	v_sub_co_ci_u32_e32 v2, vcc_lo, v8, v2, vcc_lo
	s_waitcnt lgkmcnt(0)
	v_mul_lo_u32 v7, s1, v6
	v_mul_lo_u32 v2, s0, v2
	v_mad_u64_u32 v[3:4], null, s0, v6, v[3:4]
	v_cmp_ge_u64_e64 s0, s[16:17], s[10:11]
	s_and_b32 vcc_lo, exec_lo, s0
	v_add3_u32 v4, v7, v4, v2
	s_cbranch_vccnz .LBB0_8
; %bb.7:                                ;   in Loop: Header=BB0_2 Depth=1
	v_mov_b32_e32 v7, v9
	v_mov_b32_e32 v8, v10
	s_branch .LBB0_2
.LBB0_8:
	s_lshl_b64 s[0:1], s[10:11], 3
	v_mul_hi_u32 v2, 0xaaaaaaab, v1
	s_add_u32 s0, s12, s0
	s_addc_u32 s1, s13, s1
	s_load_dwordx2 s[4:5], s[4:5], 0x20
	s_load_dwordx2 s[0:1], s[0:1], 0x0
	v_mul_hi_u32 v5, 0xf0f0f10, v0
	v_lshrrev_b32_e32 v2, 1, v2
	v_lshl_add_u32 v6, v2, 1, v2
	v_sub_nc_u32_e32 v1, v1, v6
	s_waitcnt lgkmcnt(0)
	v_cmp_gt_u64_e32 vcc_lo, s[4:5], v[9:10]
	v_mul_lo_u32 v7, s0, v10
	v_mul_lo_u32 v8, s1, v9
	v_mad_u64_u32 v[2:3], null, s0, v9, v[3:4]
	v_mul_u32_u24_e32 v4, 17, v5
	v_mul_u32_u24_e32 v109, 0xef, v1
	v_sub_nc_u32_e32 v80, v0, v4
	v_add3_u32 v3, v8, v3, v7
	v_lshlrev_b32_e32 v112, 4, v109
	v_lshlrev_b32_e32 v107, 4, v80
	v_lshlrev_b64 v[82:83], 4, v[2:3]
	s_and_saveexec_b32 s1, vcc_lo
	s_cbranch_execz .LBB0_10
; %bb.9:
	v_mov_b32_e32 v81, 0
	v_add_co_u32 v2, s0, s2, v82
	v_add_co_ci_u32_e64 v3, s0, s3, v83, s0
	v_lshlrev_b64 v[0:1], 4, v[80:81]
	v_add3_u32 v56, 0, v112, v107
	v_add_co_u32 v28, s0, v2, v0
	v_add_co_ci_u32_e64 v29, s0, v3, v1, s0
	s_clause 0x3
	global_load_dwordx4 v[0:3], v[28:29], off
	global_load_dwordx4 v[4:7], v[28:29], off offset:272
	global_load_dwordx4 v[8:11], v[28:29], off offset:544
	;; [unrolled: 1-line block ×3, first 2 shown]
	v_add_co_u32 v52, s0, 0x800, v28
	v_add_co_ci_u32_e64 v53, s0, 0, v29, s0
	s_clause 0x9
	global_load_dwordx4 v[16:19], v[28:29], off offset:1088
	global_load_dwordx4 v[20:23], v[28:29], off offset:1360
	;; [unrolled: 1-line block ×10, first 2 shown]
	s_waitcnt vmcnt(13)
	ds_write_b128 v56, v[0:3]
	s_waitcnt vmcnt(12)
	ds_write_b128 v56, v[4:7] offset:272
	s_waitcnt vmcnt(11)
	ds_write_b128 v56, v[8:11] offset:544
	;; [unrolled: 2-line block ×13, first 2 shown]
.LBB0_10:
	s_or_b32 exec_lo, exec_lo, s1
	v_add_nc_u32_e32 v108, 0, v112
	v_add_nc_u32_e32 v111, 0, v107
	s_waitcnt lgkmcnt(0)
	s_barrier
	buffer_gl0_inv
	v_add_nc_u32_e32 v106, v108, v107
	v_add_nc_u32_e32 v110, v111, v112
	s_mov_b32 s33, exec_lo
	ds_read_b128 v[0:3], v106
	ds_read_b128 v[64:67], v110 offset:224
	ds_read_b128 v[60:63], v110 offset:448
	;; [unrolled: 1-line block ×16, first 2 shown]
	s_waitcnt lgkmcnt(0)
	s_barrier
	buffer_gl0_inv
	v_cmpx_gt_u32_e32 14, v80
	s_cbranch_execz .LBB0_12
; %bb.11:
	v_add_f64 v[68:69], v[2:3], v[66:67]
	v_add_f64 v[70:71], v[0:1], v[64:65]
	;; [unrolled: 1-line block ×3, first 2 shown]
	v_add_f64 v[96:97], v[66:67], -v[6:7]
	s_mov_b32 s0, 0x7faef3
	s_mov_b32 s4, 0xacd6c6b4
	;; [unrolled: 1-line block ×6, first 2 shown]
	v_add_f64 v[76:77], v[62:63], v[10:11]
	v_add_f64 v[88:89], v[64:65], -v[4:5]
	v_add_f64 v[86:87], v[64:65], v[4:5]
	s_mov_b32 s10, 0x370991
	s_mov_b32 s12, 0x5d8e7cdc
	;; [unrolled: 1-line block ×6, first 2 shown]
	v_add_f64 v[74:75], v[58:59], v[14:15]
	s_mov_b32 s16, 0x910ea3b9
	s_mov_b32 s18, 0x4363dd80
	v_add_f64 v[66:67], v[68:69], v[62:63]
	v_add_f64 v[72:73], v[70:71], v[60:61]
	v_add_f64 v[70:71], v[62:63], -v[10:11]
	v_mul_f64 v[78:79], v[100:101], s[0:1]
	v_mul_f64 v[84:85], v[96:97], s[6:7]
	v_add_f64 v[68:69], v[58:59], -v[14:15]
	v_add_f64 v[62:63], v[60:61], -v[8:9]
	v_add_f64 v[60:61], v[60:61], v[8:9]
	s_mov_b32 s17, 0xbfeb34fa
	s_mov_b32 s19, 0x3fe0d888
	v_mul_f64 v[92:93], v[76:77], s[10:11]
	s_mov_b32 s21, 0xbfe0d888
	s_mov_b32 s20, s18
	v_add_f64 v[64:65], v[54:55], -v[18:19]
	s_mov_b32 s22, 0x75d4884
	s_mov_b32 s30, 0x2a9d6da3
	;; [unrolled: 1-line block ×5, first 2 shown]
	v_mul_f64 v[113:114], v[74:75], s[16:17]
	s_mov_b32 s28, s30
	s_mov_b32 s24, 0x6ed5f1bb
	v_add_f64 v[66:67], v[66:67], v[58:59]
	v_add_f64 v[90:91], v[72:73], v[56:57]
	v_mul_f64 v[94:95], v[70:71], s[14:15]
	v_fma_f64 v[98:99], v[88:89], s[4:5], v[78:79]
	v_fma_f64 v[102:103], v[86:87], s[0:1], v[84:85]
	v_add_f64 v[72:73], v[54:55], v[18:19]
	v_add_f64 v[58:59], v[56:57], -v[12:13]
	v_add_f64 v[56:57], v[56:57], v[12:13]
	v_fma_f64 v[115:116], v[88:89], s[6:7], v[78:79]
	v_mul_f64 v[117:118], v[68:69], s[20:21]
	v_fma_f64 v[119:120], v[86:87], s[0:1], -v[84:85]
	v_fma_f64 v[121:122], v[62:63], s[12:13], v[92:93]
	v_add_f64 v[84:85], v[52:53], -v[16:17]
	v_add_f64 v[78:79], v[52:53], v[16:17]
	v_mul_f64 v[129:130], v[64:65], s[28:29]
	v_fma_f64 v[131:132], v[62:63], s[14:15], v[92:93]
	s_mov_b32 s26, 0x6c9a05f6
	s_mov_b32 s25, 0xbfe348c8
	;; [unrolled: 1-line block ×5, first 2 shown]
	v_add_f64 v[92:93], v[48:49], -v[20:21]
	v_add_f64 v[104:105], v[66:67], v[54:55]
	v_add_f64 v[90:91], v[90:91], v[52:53]
	v_fma_f64 v[123:124], v[60:61], s[10:11], v[94:95]
	v_add_f64 v[98:99], v[2:3], v[98:99]
	v_add_f64 v[102:103], v[0:1], v[102:103]
	;; [unrolled: 1-line block ×3, first 2 shown]
	v_add_f64 v[54:55], v[50:51], -v[22:23]
	v_mul_f64 v[127:128], v[72:73], s[22:23]
	v_add_f64 v[115:116], v[2:3], v[115:116]
	v_fma_f64 v[94:95], v[60:61], s[10:11], -v[94:95]
	v_add_f64 v[119:120], v[0:1], v[119:120]
	v_fma_f64 v[133:134], v[58:59], s[18:19], v[113:114]
	v_fma_f64 v[135:136], v[56:57], s[16:17], v[117:118]
	v_add_f64 v[52:53], v[46:47], v[26:27]
	v_fma_f64 v[113:114], v[58:59], s[20:21], v[113:114]
	v_fma_f64 v[117:118], v[56:57], s[16:17], -v[117:118]
	v_fma_f64 v[137:138], v[78:79], s[22:23], v[129:130]
	s_mov_b32 s34, 0x2b2883cd
	s_mov_b32 s38, 0x7c9e640b
	;; [unrolled: 1-line block ×5, first 2 shown]
	v_add_f64 v[104:105], v[104:105], v[50:51]
	v_add_f64 v[125:126], v[90:91], v[48:49]
	v_add_f64 v[50:51], v[46:47], -v[26:27]
	v_add_f64 v[98:99], v[121:122], v[98:99]
	v_add_f64 v[102:103], v[123:124], v[102:103]
	;; [unrolled: 1-line block ×3, first 2 shown]
	v_mul_f64 v[123:124], v[66:67], s[24:25]
	s_mov_b32 s40, s38
	v_add_f64 v[115:116], v[131:132], v[115:116]
	v_fma_f64 v[131:132], v[84:85], s[30:31], v[127:128]
	v_add_f64 v[119:120], v[94:95], v[119:120]
	v_add_f64 v[48:49], v[42:43], v[30:31]
	v_add_f64 v[94:95], v[44:45], v[24:25]
	v_mul_f64 v[139:140], v[52:53], s[34:35]
	v_fma_f64 v[127:128], v[84:85], s[28:29], v[127:128]
	s_mov_b32 s42, 0xc61f0d01
	s_mov_b32 s48, 0x923c349f
	;; [unrolled: 1-line block ×7, first 2 shown]
	v_add_f64 v[104:105], v[104:105], v[46:47]
	v_add_f64 v[121:122], v[125:126], v[44:45]
	v_mul_f64 v[125:126], v[54:55], s[36:37]
	v_add_f64 v[133:134], v[133:134], v[98:99]
	v_add_f64 v[102:103], v[135:136], v[102:103]
	v_add_f64 v[46:47], v[42:43], -v[30:31]
	v_add_f64 v[98:99], v[44:45], -v[24:25]
	v_mul_f64 v[141:142], v[50:51], s[40:41]
	v_add_f64 v[113:114], v[113:114], v[115:116]
	v_fma_f64 v[115:116], v[78:79], s[22:23], -v[129:130]
	v_add_f64 v[117:118], v[117:118], v[119:120]
	v_fma_f64 v[119:120], v[92:93], s[26:27], v[123:124]
	v_add_f64 v[44:45], v[38:39], v[34:35]
	v_fma_f64 v[123:124], v[92:93], s[36:37], v[123:124]
	s_mov_b32 s47, 0x3fb79ee6
	v_mul_f64 v[143:144], v[76:77], s[34:35]
	v_mul_f64 v[145:146], v[100:101], s[24:25]
	s_mov_b32 s50, 0xeb564b22
	s_mov_b32 s51, 0xbfefdd0d
	;; [unrolled: 1-line block ×4, first 2 shown]
	v_mul_f64 v[151:152], v[76:77], s[42:43]
	v_add_f64 v[135:136], v[104:105], v[42:43]
	v_add_f64 v[121:122], v[121:122], v[40:41]
	v_fma_f64 v[129:130], v[90:91], s[24:25], v[125:126]
	v_add_f64 v[131:132], v[131:132], v[133:134]
	v_add_f64 v[133:134], v[137:138], v[102:103]
	v_add_f64 v[42:43], v[38:39], -v[34:35]
	v_add_f64 v[104:105], v[40:41], -v[28:29]
	v_add_f64 v[102:103], v[40:41], v[28:29]
	v_mul_f64 v[137:138], v[46:47], s[44:45]
	v_add_f64 v[113:114], v[127:128], v[113:114]
	v_fma_f64 v[125:126], v[90:91], s[24:25], -v[125:126]
	v_add_f64 v[115:116], v[115:116], v[117:118]
	v_fma_f64 v[117:118], v[98:99], s[38:39], v[139:140]
	v_fma_f64 v[127:128], v[94:95], s[34:35], v[141:142]
	v_add_f64 v[40:41], v[36:37], -v[32:33]
	v_fma_f64 v[139:140], v[98:99], s[40:41], v[139:140]
	v_fma_f64 v[157:158], v[88:89], s[26:27], v[145:146]
	v_mul_f64 v[155:156], v[72:73], s[24:25]
	v_fma_f64 v[145:146], v[88:89], s[36:37], v[145:146]
	v_fma_f64 v[165:166], v[62:63], s[44:45], v[151:152]
	v_add_f64 v[38:39], v[135:136], v[38:39]
	v_add_f64 v[121:122], v[121:122], v[36:37]
	v_mul_f64 v[135:136], v[48:49], s[42:43]
	v_add_f64 v[119:120], v[119:120], v[131:132]
	v_add_f64 v[129:130], v[129:130], v[133:134]
	v_mul_f64 v[131:132], v[100:101], s[16:17]
	v_mul_f64 v[133:134], v[96:97], s[20:21]
	v_add_f64 v[36:37], v[36:37], v[32:33]
	v_fma_f64 v[147:148], v[102:103], s[42:43], v[137:138]
	v_add_f64 v[113:114], v[123:124], v[113:114]
	v_fma_f64 v[123:124], v[94:95], s[34:35], -v[141:142]
	v_add_f64 v[115:116], v[125:126], v[115:116]
	v_mul_f64 v[125:126], v[70:71], s[40:41]
	v_fma_f64 v[137:138], v[102:103], s[42:43], -v[137:138]
	v_add_f64 v[157:158], v[2:3], v[157:158]
	v_add_f64 v[145:146], v[2:3], v[145:146]
	;; [unrolled: 1-line block ×4, first 2 shown]
	v_mul_f64 v[38:39], v[44:45], s[46:47]
	v_fma_f64 v[141:142], v[104:105], s[48:49], v[135:136]
	v_add_f64 v[117:118], v[117:118], v[119:120]
	v_add_f64 v[119:120], v[127:128], v[129:130]
	v_fma_f64 v[149:150], v[88:89], s[18:19], v[131:132]
	v_fma_f64 v[153:154], v[86:87], s[16:17], v[133:134]
	v_mul_f64 v[121:122], v[42:43], s[52:53]
	v_mul_f64 v[127:128], v[74:75], s[46:47]
	;; [unrolled: 1-line block ×3, first 2 shown]
	v_fma_f64 v[131:132], v[88:89], s[20:21], v[131:132]
	v_fma_f64 v[133:134], v[86:87], s[16:17], -v[133:134]
	v_fma_f64 v[135:136], v[104:105], s[44:45], v[135:136]
	v_add_f64 v[113:114], v[139:140], v[113:114]
	v_add_f64 v[115:116], v[123:124], v[115:116]
	v_fma_f64 v[161:162], v[60:61], s[34:35], v[125:126]
	v_mul_f64 v[123:124], v[70:71], s[48:49]
	v_fma_f64 v[125:126], v[60:61], s[34:35], -v[125:126]
	v_add_f64 v[157:158], v[165:166], v[157:158]
	v_mul_f64 v[165:166], v[48:49], s[22:23]
	v_add_f64 v[30:31], v[34:35], v[30:31]
	v_add_f64 v[28:29], v[32:33], v[28:29]
	v_mul_f64 v[32:33], v[96:97], s[36:37]
	v_fma_f64 v[139:140], v[40:41], s[50:51], v[38:39]
	v_add_f64 v[117:118], v[141:142], v[117:118]
	v_add_f64 v[119:120], v[147:148], v[119:120]
	v_fma_f64 v[147:148], v[62:63], s[38:39], v[143:144]
	v_add_f64 v[149:150], v[2:3], v[149:150]
	v_add_f64 v[153:154], v[0:1], v[153:154]
	v_mul_f64 v[34:35], v[64:65], s[26:27]
	v_fma_f64 v[159:160], v[36:37], s[46:47], v[121:122]
	v_mul_f64 v[141:142], v[74:75], s[10:11]
	v_fma_f64 v[143:144], v[62:63], s[40:41], v[143:144]
	v_add_f64 v[131:132], v[2:3], v[131:132]
	v_add_f64 v[133:134], v[0:1], v[133:134]
	v_add_f64 v[113:114], v[135:136], v[113:114]
	v_add_f64 v[115:116], v[137:138], v[115:116]
	v_fma_f64 v[38:39], v[40:41], s[52:53], v[38:39]
	v_fma_f64 v[121:122], v[36:37], s[46:47], -v[121:122]
	v_mul_f64 v[135:136], v[66:67], s[10:11]
	v_mul_f64 v[137:138], v[54:55], s[12:13]
	v_add_f64 v[30:31], v[30:31], v[26:27]
	v_add_f64 v[28:29], v[28:29], v[24:25]
	v_fma_f64 v[163:164], v[86:87], s[24:25], v[32:33]
	v_fma_f64 v[32:33], v[86:87], s[24:25], -v[32:33]
	v_add_f64 v[26:27], v[139:140], v[117:118]
	v_mul_f64 v[117:118], v[52:53], s[0:1]
	v_add_f64 v[139:140], v[147:148], v[149:150]
	v_fma_f64 v[147:148], v[58:59], s[52:53], v[127:128]
	v_add_f64 v[149:150], v[161:162], v[153:154]
	v_fma_f64 v[153:154], v[56:57], s[46:47], v[129:130]
	v_add_f64 v[24:25], v[159:160], v[119:120]
	v_mul_f64 v[119:120], v[68:69], s[12:13]
	v_add_f64 v[131:132], v[143:144], v[131:132]
	v_fma_f64 v[143:144], v[60:61], s[42:43], v[123:124]
	v_fma_f64 v[127:128], v[58:59], s[50:51], v[127:128]
	v_add_f64 v[125:126], v[125:126], v[133:134]
	v_mul_f64 v[133:134], v[72:73], s[16:17]
	v_fma_f64 v[129:130], v[56:57], s[46:47], -v[129:130]
	v_fma_f64 v[161:162], v[58:59], s[14:15], v[141:142]
	v_fma_f64 v[141:142], v[58:59], s[12:13], v[141:142]
	v_add_f64 v[30:31], v[30:31], v[22:23]
	v_add_f64 v[28:29], v[28:29], v[20:21]
	;; [unrolled: 1-line block ×5, first 2 shown]
	v_fma_f64 v[113:114], v[84:85], s[36:37], v[155:156]
	v_fma_f64 v[121:122], v[78:79], s[24:25], v[34:35]
	v_mul_f64 v[163:164], v[50:51], s[6:7]
	v_add_f64 v[115:116], v[147:148], v[139:140]
	v_fma_f64 v[147:148], v[62:63], s[48:49], v[151:152]
	v_add_f64 v[139:140], v[153:154], v[149:150]
	v_mul_f64 v[38:39], v[100:101], s[42:43]
	v_mul_f64 v[149:150], v[64:65], s[20:21]
	v_fma_f64 v[151:152], v[56:57], s[10:11], v[119:120]
	v_fma_f64 v[153:154], v[84:85], s[26:27], v[155:156]
	v_add_f64 v[127:128], v[127:128], v[131:132]
	v_mul_f64 v[131:132], v[66:67], s[46:47]
	v_fma_f64 v[34:35], v[78:79], s[24:25], -v[34:35]
	v_add_f64 v[125:126], v[129:130], v[125:126]
	v_add_f64 v[155:156], v[161:162], v[157:158]
	v_fma_f64 v[157:158], v[84:85], s[18:19], v[133:134]
	v_add_f64 v[32:33], v[0:1], v[32:33]
	v_add_f64 v[18:19], v[30:31], v[18:19]
	;; [unrolled: 1-line block ×4, first 2 shown]
	v_fma_f64 v[28:29], v[60:61], s[42:43], -v[123:124]
	v_fma_f64 v[123:124], v[90:91], s[10:11], v[137:138]
	v_mul_f64 v[129:130], v[46:47], s[28:29]
	v_mul_f64 v[30:31], v[76:77], s[16:17]
	;; [unrolled: 1-line block ×3, first 2 shown]
	v_add_f64 v[113:114], v[113:114], v[115:116]
	v_fma_f64 v[115:116], v[92:93], s[14:15], v[135:136]
	v_add_f64 v[121:122], v[121:122], v[139:140]
	v_add_f64 v[139:140], v[147:148], v[145:146]
	v_fma_f64 v[145:146], v[88:89], s[48:49], v[38:39]
	v_mul_f64 v[147:148], v[52:53], s[22:23]
	v_fma_f64 v[135:136], v[92:93], s[12:13], v[135:136]
	v_add_f64 v[127:128], v[153:154], v[127:128]
	v_fma_f64 v[137:138], v[90:91], s[10:11], -v[137:138]
	v_fma_f64 v[119:120], v[56:57], s[10:11], -v[119:120]
	v_add_f64 v[34:35], v[34:35], v[125:126]
	v_fma_f64 v[125:126], v[78:79], s[16:17], v[149:150]
	v_add_f64 v[153:154], v[157:158], v[155:156]
	v_fma_f64 v[155:156], v[92:93], s[50:51], v[131:132]
	v_add_f64 v[14:15], v[18:19], v[14:15]
	v_add_f64 v[12:13], v[16:17], v[12:13]
	;; [unrolled: 1-line block ×4, first 2 shown]
	v_fma_f64 v[28:29], v[98:99], s[4:5], v[117:118]
	v_fma_f64 v[133:134], v[84:85], s[20:21], v[133:134]
	v_mul_f64 v[151:152], v[44:45], s[42:43]
	v_mul_f64 v[16:17], v[74:75], s[22:23]
	;; [unrolled: 1-line block ×3, first 2 shown]
	v_add_f64 v[113:114], v[115:116], v[113:114]
	v_fma_f64 v[115:116], v[94:95], s[0:1], v[163:164]
	v_add_f64 v[121:122], v[123:124], v[121:122]
	v_add_f64 v[139:140], v[141:142], v[139:140]
	v_mul_f64 v[141:142], v[96:97], s[44:45]
	v_fma_f64 v[123:124], v[62:63], s[20:21], v[30:31]
	v_add_f64 v[145:146], v[2:3], v[145:146]
	v_add_f64 v[127:128], v[135:136], v[127:128]
	v_mul_f64 v[135:136], v[50:51], s[30:31]
	v_fma_f64 v[117:118], v[98:99], s[6:7], v[117:118]
	v_add_f64 v[34:35], v[137:138], v[34:35]
	v_fma_f64 v[137:138], v[90:91], s[46:47], v[159:160]
	v_fma_f64 v[157:158], v[94:95], s[0:1], -v[163:164]
	v_add_f64 v[153:154], v[155:156], v[153:154]
	v_fma_f64 v[155:156], v[98:99], s[28:29], v[147:148]
	v_add_f64 v[125:126], v[125:126], v[143:144]
	v_mul_f64 v[143:144], v[48:49], s[0:1]
	v_add_f64 v[10:11], v[14:15], v[10:11]
	v_add_f64 v[8:9], v[12:13], v[8:9]
	v_fma_f64 v[12:13], v[104:105], s[30:31], v[165:166]
	v_add_f64 v[32:33], v[119:120], v[32:33]
	v_mul_f64 v[161:162], v[72:73], s[34:35]
	v_add_f64 v[14:15], v[28:29], v[113:114]
	v_mul_f64 v[113:114], v[46:47], s[6:7]
	v_add_f64 v[115:116], v[115:116], v[121:122]
	v_fma_f64 v[121:122], v[102:103], s[22:23], v[129:130]
	v_fma_f64 v[119:120], v[86:87], s[42:43], v[141:142]
	v_add_f64 v[133:134], v[133:134], v[139:140]
	v_mul_f64 v[139:140], v[70:71], s[18:19]
	v_add_f64 v[123:124], v[123:124], v[145:146]
	v_fma_f64 v[145:146], v[78:79], s[16:17], -v[149:150]
	v_add_f64 v[117:118], v[117:118], v[127:128]
	v_mul_f64 v[127:128], v[100:101], s[46:47]
	v_fma_f64 v[149:150], v[104:105], s[28:29], v[165:166]
	v_fma_f64 v[38:39], v[88:89], s[44:45], v[38:39]
	v_add_f64 v[34:35], v[157:158], v[34:35]
	v_fma_f64 v[157:158], v[58:59], s[30:31], v[16:17]
	v_add_f64 v[125:126], v[137:138], v[125:126]
	;; [unrolled: 2-line block ×3, first 2 shown]
	v_fma_f64 v[155:156], v[40:41], s[48:49], v[151:152]
	v_fma_f64 v[141:142], v[86:87], s[42:43], -v[141:142]
	v_fma_f64 v[129:130], v[102:103], s[22:23], -v[129:130]
	v_mul_f64 v[165:166], v[68:69], s[28:29]
	v_add_f64 v[12:13], v[12:13], v[14:15]
	v_fma_f64 v[14:15], v[36:37], s[42:43], v[18:19]
	v_mul_f64 v[28:29], v[44:45], s[34:35]
	v_add_f64 v[115:116], v[121:122], v[115:116]
	v_fma_f64 v[121:122], v[104:105], s[4:5], v[143:144]
	v_add_f64 v[119:120], v[0:1], v[119:120]
	v_fma_f64 v[163:164], v[60:61], s[16:17], v[139:140]
	v_add_f64 v[6:7], v[10:11], v[6:7]
	v_add_f64 v[4:5], v[8:9], v[4:5]
	v_fma_f64 v[131:132], v[92:93], s[52:53], v[131:132]
	v_fma_f64 v[159:160], v[90:91], s[46:47], -v[159:160]
	v_add_f64 v[32:33], v[145:146], v[32:33]
	v_add_f64 v[117:118], v[149:150], v[117:118]
	v_fma_f64 v[145:146], v[40:41], s[44:45], v[151:152]
	v_fma_f64 v[149:150], v[62:63], s[18:19], v[30:31]
	v_add_f64 v[38:39], v[2:3], v[38:39]
	v_add_f64 v[125:126], v[137:138], v[125:126]
	v_fma_f64 v[137:138], v[102:103], s[0:1], v[113:114]
	v_mul_f64 v[30:31], v[42:43], s[40:41]
	v_fma_f64 v[139:140], v[60:61], s[16:17], -v[139:140]
	v_add_f64 v[141:142], v[0:1], v[141:142]
	v_add_f64 v[123:124], v[157:158], v[123:124]
	v_fma_f64 v[151:152], v[88:89], s[52:53], v[127:128]
	v_mul_f64 v[157:158], v[76:77], s[0:1]
	v_add_f64 v[34:35], v[129:130], v[34:35]
	v_fma_f64 v[18:19], v[36:37], s[42:43], -v[18:19]
	v_mul_f64 v[129:130], v[96:97], s[50:51]
	v_add_f64 v[10:11], v[155:156], v[12:13]
	v_add_f64 v[8:9], v[14:15], v[115:116]
	v_fma_f64 v[115:116], v[84:85], s[40:41], v[161:162]
	v_add_f64 v[119:120], v[163:164], v[119:120]
	v_fma_f64 v[155:156], v[56:57], s[22:23], v[165:166]
	v_mul_f64 v[163:164], v[64:65], s[38:39]
	v_add_f64 v[121:122], v[121:122], v[153:154]
	v_mul_f64 v[153:154], v[66:67], s[0:1]
	v_add_f64 v[131:132], v[131:132], v[133:134]
	v_fma_f64 v[133:134], v[40:41], s[38:39], v[28:29]
	v_add_f64 v[38:39], v[149:150], v[38:39]
	v_fma_f64 v[16:17], v[58:59], s[28:29], v[16:17]
	v_add_f64 v[14:15], v[145:146], v[117:118]
	v_add_f64 v[117:118], v[137:138], v[125:126]
	v_fma_f64 v[125:126], v[36:37], s[34:35], v[30:31]
	v_add_f64 v[137:138], v[139:140], v[141:142]
	v_fma_f64 v[139:140], v[56:57], s[22:23], -v[165:166]
	v_add_f64 v[141:142], v[2:3], v[151:152]
	v_fma_f64 v[145:146], v[62:63], s[4:5], v[157:158]
	v_mul_f64 v[149:150], v[74:75], s[42:43]
	v_add_f64 v[12:13], v[18:19], v[34:35]
	v_fma_f64 v[34:35], v[86:87], s[46:47], v[129:130]
	v_mul_f64 v[151:152], v[70:71], s[6:7]
	v_fma_f64 v[147:148], v[98:99], s[30:31], v[147:148]
	v_add_f64 v[32:33], v[159:160], v[32:33]
	v_mul_f64 v[159:160], v[54:55], s[6:7]
	v_add_f64 v[119:120], v[155:156], v[119:120]
	v_fma_f64 v[155:156], v[78:79], s[34:35], v[163:164]
	v_add_f64 v[115:116], v[115:116], v[123:124]
	v_fma_f64 v[123:124], v[92:93], s[4:5], v[153:154]
	v_mul_f64 v[165:166], v[52:53], s[46:47]
	v_fma_f64 v[135:136], v[94:95], s[22:23], -v[135:136]
	v_fma_f64 v[161:162], v[84:85], s[38:39], v[161:162]
	v_add_f64 v[38:39], v[16:17], v[38:39]
	v_add_f64 v[18:19], v[133:134], v[121:122]
	v_fma_f64 v[121:122], v[78:79], s[34:35], -v[163:164]
	v_add_f64 v[16:17], v[125:126], v[117:118]
	v_fma_f64 v[143:144], v[104:105], s[6:7], v[143:144]
	v_add_f64 v[117:118], v[139:140], v[137:138]
	v_mul_f64 v[137:138], v[72:73], s[10:11]
	v_add_f64 v[125:126], v[145:146], v[141:142]
	v_fma_f64 v[133:134], v[58:59], s[44:45], v[149:150]
	v_mul_f64 v[141:142], v[68:69], s[48:49]
	v_add_f64 v[34:35], v[0:1], v[34:35]
	v_fma_f64 v[139:140], v[60:61], s[0:1], v[151:152]
	v_add_f64 v[131:132], v[147:148], v[131:132]
	v_fma_f64 v[127:128], v[88:89], s[50:51], v[127:128]
	v_fma_f64 v[145:146], v[90:91], s[0:1], v[159:160]
	v_mul_f64 v[147:148], v[50:51], s[52:53]
	v_add_f64 v[119:120], v[155:156], v[119:120]
	v_fma_f64 v[129:130], v[86:87], s[46:47], -v[129:130]
	v_add_f64 v[115:116], v[123:124], v[115:116]
	v_fma_f64 v[123:124], v[98:99], s[50:51], v[165:166]
	v_fma_f64 v[153:154], v[92:93], s[6:7], v[153:154]
	v_mul_f64 v[155:156], v[48:49], s[10:11]
	v_add_f64 v[38:39], v[161:162], v[38:39]
	v_add_f64 v[32:33], v[135:136], v[32:33]
	v_mul_f64 v[135:136], v[66:67], s[34:35]
	v_fma_f64 v[157:158], v[62:63], s[6:7], v[157:158]
	v_fma_f64 v[151:152], v[60:61], s[0:1], -v[151:152]
	v_add_f64 v[117:118], v[121:122], v[117:118]
	v_fma_f64 v[121:122], v[90:91], s[0:1], -v[159:160]
	v_mul_f64 v[159:160], v[64:65], s[14:15]
	v_add_f64 v[125:126], v[133:134], v[125:126]
	v_fma_f64 v[133:134], v[84:85], s[12:13], v[137:138]
	v_fma_f64 v[113:114], v[102:103], s[0:1], -v[113:114]
	v_add_f64 v[34:35], v[139:140], v[34:35]
	v_fma_f64 v[139:140], v[56:57], s[42:43], v[141:142]
	v_add_f64 v[127:128], v[2:3], v[127:128]
	v_add_f64 v[131:132], v[143:144], v[131:132]
	v_fma_f64 v[143:144], v[94:95], s[46:47], v[147:148]
	v_add_f64 v[119:120], v[145:146], v[119:120]
	v_mul_f64 v[145:146], v[46:47], s[12:13]
	v_add_f64 v[129:130], v[0:1], v[129:130]
	v_add_f64 v[115:116], v[123:124], v[115:116]
	v_mul_f64 v[123:124], v[100:101], s[34:35]
	v_fma_f64 v[161:162], v[98:99], s[52:53], v[165:166]
	v_add_f64 v[38:39], v[153:154], v[38:39]
	v_fma_f64 v[153:154], v[104:105], s[14:15], v[155:156]
	v_fma_f64 v[149:150], v[58:59], s[48:49], v[149:150]
	v_fma_f64 v[141:142], v[56:57], s[42:43], -v[141:142]
	v_fma_f64 v[137:138], v[84:85], s[14:15], v[137:138]
	v_fma_f64 v[28:29], v[40:41], s[40:41], v[28:29]
	v_add_f64 v[117:118], v[121:122], v[117:118]
	v_fma_f64 v[121:122], v[94:95], s[46:47], -v[147:148]
	v_mul_f64 v[147:148], v[52:53], s[16:17]
	v_add_f64 v[125:126], v[133:134], v[125:126]
	v_fma_f64 v[133:134], v[92:93], s[40:41], v[135:136]
	v_fma_f64 v[163:164], v[78:79], s[10:11], v[159:160]
	v_add_f64 v[139:140], v[139:140], v[34:35]
	v_add_f64 v[127:128], v[157:158], v[127:128]
	v_mul_f64 v[157:158], v[54:55], s[38:39]
	v_add_f64 v[34:35], v[113:114], v[32:33]
	v_add_f64 v[119:120], v[143:144], v[119:120]
	v_fma_f64 v[143:144], v[102:103], s[10:11], v[145:146]
	v_add_f64 v[129:130], v[151:152], v[129:130]
	v_mul_f64 v[151:152], v[76:77], s[24:25]
	v_fma_f64 v[113:114], v[88:89], s[40:41], v[123:124]
	v_fma_f64 v[123:124], v[88:89], s[38:39], v[123:124]
	v_add_f64 v[38:39], v[161:162], v[38:39]
	v_add_f64 v[32:33], v[153:154], v[115:116]
	v_mul_f64 v[115:116], v[96:97], s[38:39]
	v_fma_f64 v[153:154], v[104:105], s[12:13], v[155:156]
	v_mul_f64 v[155:156], v[74:75], s[0:1]
	v_mul_f64 v[161:162], v[70:71], s[36:37]
	v_fma_f64 v[135:136], v[92:93], s[38:39], v[135:136]
	v_add_f64 v[117:118], v[121:122], v[117:118]
	v_fma_f64 v[145:146], v[102:103], s[10:11], -v[145:146]
	v_fma_f64 v[30:31], v[36:37], s[34:35], -v[30:31]
	v_add_f64 v[121:122], v[133:134], v[125:126]
	v_fma_f64 v[125:126], v[98:99], s[18:19], v[147:148]
	v_add_f64 v[133:134], v[163:164], v[139:140]
	v_add_f64 v[127:128], v[149:150], v[127:128]
	v_fma_f64 v[139:140], v[90:91], s[34:35], v[157:158]
	v_mul_f64 v[149:150], v[50:51], s[20:21]
	v_fma_f64 v[147:148], v[98:99], s[20:21], v[147:148]
	v_add_f64 v[119:120], v[143:144], v[119:120]
	v_add_f64 v[129:130], v[141:142], v[129:130]
	v_fma_f64 v[141:142], v[78:79], s[10:11], -v[159:160]
	v_add_f64 v[113:114], v[2:3], v[113:114]
	v_fma_f64 v[143:144], v[62:63], s[26:27], v[151:152]
	v_fma_f64 v[151:152], v[62:63], s[36:37], v[151:152]
	v_add_f64 v[123:124], v[2:3], v[123:124]
	v_fma_f64 v[159:160], v[86:87], s[34:35], v[115:116]
	v_fma_f64 v[115:116], v[86:87], s[34:35], -v[115:116]
	v_add_f64 v[38:39], v[153:154], v[38:39]
	v_mul_f64 v[153:154], v[72:73], s[42:43]
	v_add_f64 v[117:118], v[145:146], v[117:118]
	v_mul_f64 v[145:146], v[96:97], s[30:31]
	v_mul_f64 v[96:97], v[96:97], s[12:13]
	v_add_f64 v[121:122], v[125:126], v[121:122]
	v_mul_f64 v[125:126], v[48:49], s[24:25]
	v_add_f64 v[127:128], v[137:138], v[127:128]
	v_add_f64 v[133:134], v[139:140], v[133:134]
	v_fma_f64 v[139:140], v[94:95], s[16:17], v[149:150]
	v_mul_f64 v[137:138], v[46:47], s[26:27]
	v_fma_f64 v[149:150], v[94:95], s[16:17], -v[149:150]
	v_add_f64 v[129:130], v[141:142], v[129:130]
	v_fma_f64 v[141:142], v[90:91], s[34:35], -v[157:158]
	v_add_f64 v[113:114], v[143:144], v[113:114]
	v_fma_f64 v[143:144], v[58:59], s[6:7], v[155:156]
	v_add_f64 v[123:124], v[151:152], v[123:124]
	v_add_f64 v[157:158], v[0:1], v[159:160]
	v_fma_f64 v[159:160], v[60:61], s[24:25], v[161:162]
	v_mul_f64 v[151:152], v[68:69], s[4:5]
	v_fma_f64 v[155:156], v[58:59], s[4:5], v[155:156]
	v_fma_f64 v[161:162], v[60:61], s[24:25], -v[161:162]
	v_add_f64 v[115:116], v[0:1], v[115:116]
	v_add_f64 v[127:128], v[135:136], v[127:128]
	;; [unrolled: 1-line block ×3, first 2 shown]
	v_fma_f64 v[139:140], v[104:105], s[36:37], v[125:126]
	v_fma_f64 v[135:136], v[102:103], s[24:25], v[137:138]
	;; [unrolled: 1-line block ×3, first 2 shown]
	v_add_f64 v[129:130], v[141:142], v[129:130]
	v_fma_f64 v[141:142], v[84:85], s[44:45], v[153:154]
	v_add_f64 v[113:114], v[143:144], v[113:114]
	v_mul_f64 v[143:144], v[66:67], s[22:23]
	v_fma_f64 v[153:154], v[84:85], s[48:49], v[153:154]
	v_add_f64 v[157:158], v[159:160], v[157:158]
	v_fma_f64 v[159:160], v[56:57], s[0:1], v[151:152]
	v_add_f64 v[123:124], v[155:156], v[123:124]
	v_mul_f64 v[155:156], v[64:65], s[48:49]
	v_add_f64 v[115:116], v[161:162], v[115:116]
	v_mul_f64 v[161:162], v[100:101], s[22:23]
	v_fma_f64 v[151:152], v[56:57], s[0:1], -v[151:152]
	v_mul_f64 v[100:101], v[100:101], s[10:11]
	v_add_f64 v[127:128], v[147:148], v[127:128]
	v_add_f64 v[121:122], v[139:140], v[121:122]
	;; [unrolled: 1-line block ×3, first 2 shown]
	v_mul_f64 v[139:140], v[52:53], s[10:11]
	v_add_f64 v[129:130], v[149:150], v[129:130]
	v_mul_f64 v[149:150], v[54:55], s[28:29]
	v_add_f64 v[113:114], v[141:142], v[113:114]
	v_fma_f64 v[135:136], v[92:93], s[30:31], v[143:144]
	v_fma_f64 v[143:144], v[92:93], s[28:29], v[143:144]
	v_add_f64 v[141:142], v[159:160], v[157:158]
	v_add_f64 v[123:124], v[153:154], v[123:124]
	v_fma_f64 v[147:148], v[78:79], s[42:43], v[155:156]
	v_mul_f64 v[157:158], v[76:77], s[46:47]
	v_fma_f64 v[153:154], v[88:89], s[28:29], v[161:162]
	v_add_f64 v[115:116], v[151:152], v[115:116]
	v_fma_f64 v[151:152], v[78:79], s[42:43], -v[155:156]
	v_fma_f64 v[155:156], v[86:87], s[22:23], v[145:146]
	v_fma_f64 v[159:160], v[88:89], s[30:31], v[161:162]
	v_fma_f64 v[145:146], v[86:87], s[22:23], -v[145:146]
	v_fma_f64 v[161:162], v[88:89], s[14:15], v[100:101]
	v_fma_f64 v[88:89], v[88:89], s[12:13], v[100:101]
	;; [unrolled: 1-line block ×3, first 2 shown]
	v_fma_f64 v[86:87], v[86:87], s[10:11], -v[96:97]
	v_mul_f64 v[96:97], v[70:71], s[50:51]
	v_mul_f64 v[76:77], v[76:77], s[22:23]
	v_add_f64 v[125:126], v[125:126], v[127:128]
	v_fma_f64 v[127:128], v[98:99], s[14:15], v[139:140]
	v_mul_f64 v[70:71], v[70:71], s[30:31]
	v_add_f64 v[113:114], v[135:136], v[113:114]
	v_fma_f64 v[135:136], v[102:103], s[24:25], -v[137:138]
	v_fma_f64 v[139:140], v[98:99], s[12:13], v[139:140]
	v_add_f64 v[123:124], v[143:144], v[123:124]
	v_add_f64 v[137:138], v[147:148], v[141:142]
	v_fma_f64 v[147:148], v[62:63], s[52:53], v[157:158]
	v_add_f64 v[141:142], v[2:3], v[153:154]
	v_mul_f64 v[153:154], v[74:75], s[24:25]
	v_fma_f64 v[143:144], v[90:91], s[22:23], v[149:150]
	v_add_f64 v[115:116], v[151:152], v[115:116]
	v_add_f64 v[151:152], v[0:1], v[155:156]
	v_fma_f64 v[155:156], v[62:63], s[50:51], v[157:158]
	v_add_f64 v[157:158], v[2:3], v[159:160]
	v_add_f64 v[145:146], v[0:1], v[145:146]
	;; [unrolled: 1-line block ×4, first 2 shown]
	v_fma_f64 v[159:160], v[60:61], s[46:47], -v[96:97]
	v_add_f64 v[2:3], v[2:3], v[88:89]
	v_add_f64 v[0:1], v[0:1], v[86:87]
	v_mul_f64 v[86:87], v[68:69], s[36:37]
	v_fma_f64 v[88:89], v[62:63], s[30:31], v[76:77]
	v_mul_f64 v[74:75], v[74:75], s[34:35]
	v_add_f64 v[113:114], v[127:128], v[113:114]
	v_fma_f64 v[127:128], v[60:61], s[22:23], -v[70:71]
	v_mul_f64 v[68:69], v[68:69], s[38:39]
	v_fma_f64 v[96:97], v[60:61], s[46:47], v[96:97]
	v_fma_f64 v[62:63], v[62:63], s[28:29], v[76:77]
	v_fma_f64 v[60:61], v[60:61], s[22:23], v[70:71]
	v_fma_f64 v[149:150], v[90:91], s[22:23], -v[149:150]
	v_add_f64 v[141:142], v[147:148], v[141:142]
	v_fma_f64 v[147:148], v[58:59], s[26:27], v[153:154]
	v_add_f64 v[137:138], v[143:144], v[137:138]
	v_mul_f64 v[143:144], v[72:73], s[0:1]
	v_fma_f64 v[153:154], v[58:59], s[36:37], v[153:154]
	v_add_f64 v[155:156], v[155:156], v[157:158]
	v_mul_f64 v[157:158], v[64:65], s[6:7]
	v_mul_f64 v[72:73], v[72:73], s[46:47]
	;; [unrolled: 1-line block ×3, first 2 shown]
	v_add_f64 v[145:146], v[159:160], v[145:146]
	v_add_f64 v[123:124], v[139:140], v[123:124]
	v_add_f64 v[129:130], v[135:136], v[129:130]
	v_fma_f64 v[159:160], v[56:57], s[24:25], -v[86:87]
	v_add_f64 v[88:89], v[88:89], v[2:3]
	v_fma_f64 v[163:164], v[58:59], s[38:39], v[74:75]
	v_add_f64 v[2:3], v[28:29], v[131:132]
	v_add_f64 v[0:1], v[127:128], v[0:1]
	v_fma_f64 v[70:71], v[56:57], s[34:35], -v[68:69]
	v_add_f64 v[28:29], v[96:97], v[151:152]
	v_fma_f64 v[86:87], v[56:57], s[24:25], v[86:87]
	v_fma_f64 v[58:59], v[58:59], s[40:41], v[74:75]
	v_add_f64 v[62:63], v[62:63], v[161:162]
	v_fma_f64 v[56:57], v[56:57], s[34:35], v[68:69]
	v_add_f64 v[60:61], v[60:61], v[100:101]
	v_add_f64 v[115:116], v[149:150], v[115:116]
	;; [unrolled: 1-line block ×3, first 2 shown]
	v_fma_f64 v[127:128], v[84:85], s[4:5], v[143:144]
	v_add_f64 v[131:132], v[153:154], v[155:156]
	v_mul_f64 v[141:142], v[66:67], s[16:17]
	v_fma_f64 v[143:144], v[84:85], s[6:7], v[143:144]
	v_fma_f64 v[147:148], v[78:79], s[0:1], -v[157:158]
	v_mul_f64 v[149:150], v[54:55], s[18:19]
	v_fma_f64 v[74:75], v[84:85], s[50:51], v[72:73]
	v_mul_f64 v[66:67], v[66:67], s[42:43]
	v_add_f64 v[145:146], v[159:160], v[145:146]
	v_mul_f64 v[54:55], v[54:55], s[44:45]
	v_add_f64 v[88:89], v[163:164], v[88:89]
	v_fma_f64 v[153:154], v[78:79], s[0:1], v[157:158]
	v_fma_f64 v[72:73], v[84:85], s[52:53], v[72:73]
	v_add_f64 v[0:1], v[70:71], v[0:1]
	v_fma_f64 v[70:71], v[78:79], s[46:47], -v[64:65]
	v_add_f64 v[28:29], v[86:87], v[28:29]
	v_fma_f64 v[64:65], v[78:79], s[46:47], v[64:65]
	v_add_f64 v[58:59], v[58:59], v[62:63]
	v_mul_f64 v[86:87], v[50:51], s[12:13]
	v_add_f64 v[56:57], v[56:57], v[60:61]
	v_mul_f64 v[84:85], v[50:51], s[48:49]
	v_mul_f64 v[50:51], v[50:51], s[36:37]
	v_add_f64 v[127:128], v[127:128], v[139:140]
	v_mul_f64 v[62:63], v[48:49], s[46:47]
	v_mul_f64 v[135:136], v[44:45], s[24:25]
	v_add_f64 v[131:132], v[143:144], v[131:132]
	v_fma_f64 v[143:144], v[92:93], s[18:19], v[141:142]
	v_fma_f64 v[141:142], v[92:93], s[20:21], v[141:142]
	v_mul_f64 v[68:69], v[44:45], s[22:23]
	v_mul_f64 v[76:77], v[42:43], s[36:37]
	v_add_f64 v[139:140], v[147:148], v[145:146]
	v_fma_f64 v[145:146], v[90:91], s[16:17], -v[149:150]
	v_mul_f64 v[147:148], v[52:53], s[42:43]
	v_add_f64 v[74:75], v[74:75], v[88:89]
	v_fma_f64 v[88:89], v[92:93], s[44:45], v[66:67]
	v_mul_f64 v[52:53], v[52:53], s[24:25]
	v_add_f64 v[0:1], v[70:71], v[0:1]
	v_fma_f64 v[70:71], v[90:91], s[42:43], -v[54:55]
	v_add_f64 v[28:29], v[153:154], v[28:29]
	v_fma_f64 v[149:150], v[90:91], s[16:17], v[149:150]
	v_fma_f64 v[66:67], v[92:93], s[48:49], v[66:67]
	v_add_f64 v[58:59], v[72:73], v[58:59]
	v_fma_f64 v[54:55], v[90:91], s[42:43], v[54:55]
	v_add_f64 v[56:57], v[64:65], v[56:57]
	v_fma_f64 v[153:154], v[94:95], s[10:11], -v[86:87]
	v_mul_f64 v[90:91], v[46:47], s[40:41]
	v_fma_f64 v[92:93], v[94:95], s[42:43], -v[84:85]
	v_fma_f64 v[86:87], v[94:95], s[10:11], v[86:87]
	v_add_f64 v[131:132], v[143:144], v[131:132]
	v_mul_f64 v[143:144], v[46:47], s[50:51]
	v_mul_f64 v[46:47], v[46:47], s[20:21]
	v_fma_f64 v[72:73], v[104:105], s[52:53], v[62:63]
	v_fma_f64 v[62:63], v[104:105], s[50:51], v[62:63]
	v_add_f64 v[139:140], v[145:146], v[139:140]
	v_mul_f64 v[145:146], v[48:49], s[34:35]
	v_mul_f64 v[48:49], v[48:49], s[16:17]
	v_add_f64 v[74:75], v[88:89], v[74:75]
	v_fma_f64 v[88:89], v[98:99], s[48:49], v[147:148]
	v_fma_f64 v[64:65], v[98:99], s[36:37], v[52:53]
	v_add_f64 v[0:1], v[70:71], v[0:1]
	v_fma_f64 v[70:71], v[94:95], s[24:25], -v[50:51]
	v_add_f64 v[127:128], v[141:142], v[127:128]
	v_fma_f64 v[147:148], v[98:99], s[44:45], v[147:148]
	v_add_f64 v[28:29], v[149:150], v[28:29]
	v_fma_f64 v[84:85], v[94:95], s[42:43], v[84:85]
	v_fma_f64 v[52:53], v[98:99], s[26:27], v[52:53]
	v_add_f64 v[58:59], v[66:67], v[58:59]
	v_fma_f64 v[50:51], v[94:95], s[24:25], v[50:51]
	v_add_f64 v[54:55], v[54:55], v[56:57]
	v_add_f64 v[115:116], v[153:154], v[115:116]
	v_mul_f64 v[153:154], v[44:45], s[16:17]
	v_mul_f64 v[149:150], v[44:45], s[10:11]
	v_mul_f64 v[44:45], v[44:45], s[0:1]
	v_fma_f64 v[56:57], v[102:103], s[34:35], -v[90:91]
	v_mul_f64 v[94:95], v[42:43], s[14:15]
	v_add_f64 v[92:93], v[92:93], v[139:140]
	v_mul_f64 v[100:101], v[42:43], s[28:29]
	v_fma_f64 v[66:67], v[104:105], s[20:21], v[48:49]
	v_fma_f64 v[141:142], v[102:103], s[46:47], -v[143:144]
	v_add_f64 v[88:89], v[88:89], v[131:132]
	v_fma_f64 v[131:132], v[104:105], s[40:41], v[145:146]
	v_add_f64 v[64:65], v[64:65], v[74:75]
	v_add_f64 v[0:1], v[70:71], v[0:1]
	v_fma_f64 v[70:71], v[102:103], s[16:17], -v[46:47]
	v_mul_f64 v[74:75], v[42:43], s[6:7]
	v_mul_f64 v[42:43], v[42:43], s[20:21]
	v_add_f64 v[86:87], v[86:87], v[137:138]
	v_fma_f64 v[98:99], v[102:103], s[46:47], v[143:144]
	v_add_f64 v[62:63], v[62:63], v[123:124]
	v_add_f64 v[123:124], v[147:148], v[127:128]
	v_fma_f64 v[127:128], v[104:105], s[38:39], v[145:146]
	v_add_f64 v[28:29], v[84:85], v[28:29]
	v_fma_f64 v[84:85], v[102:103], s[34:35], v[90:91]
	v_fma_f64 v[48:49], v[104:105], s[18:19], v[48:49]
	v_add_f64 v[52:53], v[52:53], v[58:59]
	v_fma_f64 v[46:47], v[102:103], s[16:17], v[46:47]
	v_add_f64 v[50:51], v[50:51], v[54:55]
	v_add_f64 v[56:57], v[56:57], v[92:93]
	v_fma_f64 v[58:59], v[40:41], s[14:15], v[149:150]
	v_fma_f64 v[92:93], v[36:37], s[10:11], -v[94:95]
	v_fma_f64 v[96:97], v[40:41], s[26:27], v[135:136]
	v_fma_f64 v[135:136], v[40:41], s[36:37], v[135:136]
	v_add_f64 v[54:55], v[131:132], v[88:89]
	v_add_f64 v[64:65], v[66:67], v[64:65]
	v_add_f64 v[90:91], v[141:142], v[115:116]
	v_add_f64 v[66:67], v[70:71], v[0:1]
	v_fma_f64 v[70:71], v[40:41], s[6:7], v[44:45]
	v_fma_f64 v[88:89], v[36:37], s[0:1], -v[74:75]
	v_fma_f64 v[115:116], v[40:41], s[20:21], v[153:154]
	v_fma_f64 v[102:103], v[36:37], s[16:17], -v[42:43]
	v_fma_f64 v[78:79], v[40:41], s[30:31], v[68:69]
	v_fma_f64 v[60:61], v[36:37], s[22:23], v[100:101]
	;; [unrolled: 1-line block ×3, first 2 shown]
	v_fma_f64 v[100:101], v[36:37], s[22:23], -v[100:101]
	v_fma_f64 v[151:152], v[36:37], s[24:25], v[76:77]
	v_fma_f64 v[76:77], v[36:37], s[24:25], -v[76:77]
	v_add_f64 v[72:73], v[72:73], v[113:114]
	v_add_f64 v[86:87], v[98:99], v[86:87]
	v_fma_f64 v[98:99], v[40:41], s[18:19], v[153:154]
	v_fma_f64 v[104:105], v[36:37], s[16:17], v[42:43]
	v_add_f64 v[113:114], v[127:128], v[123:124]
	v_add_f64 v[84:85], v[84:85], v[28:29]
	v_fma_f64 v[123:124], v[40:41], s[12:13], v[149:150]
	v_fma_f64 v[94:95], v[36:37], s[10:11], v[94:95]
	;; [unrolled: 1-line block ×3, first 2 shown]
	v_add_f64 v[131:132], v[48:49], v[52:53]
	v_fma_f64 v[74:75], v[36:37], s[0:1], v[74:75]
	v_add_f64 v[137:138], v[46:47], v[50:51]
	v_add_f64 v[48:49], v[70:71], v[64:65]
	;; [unrolled: 1-line block ×14, first 2 shown]
	v_mul_u32_u24_e32 v32, 0x110, v80
	v_add_f64 v[56:57], v[78:79], v[121:122]
	v_add_f64 v[54:55], v[60:61], v[133:134]
	;; [unrolled: 1-line block ×8, first 2 shown]
	v_add3_u32 v32, 0, v32, v112
	ds_write_b128 v32, v[4:7]
	ds_write_b128 v32, v[46:49] offset:16
	ds_write_b128 v32, v[42:45] offset:32
	;; [unrolled: 1-line block ×16, first 2 shown]
.LBB0_12:
	s_or_b32 exec_lo, exec_lo, s33
	v_mul_u32_u24_e32 v0, 6, v80
	s_waitcnt lgkmcnt(0)
	s_barrier
	buffer_gl0_inv
	s_mov_b32 s10, 0x37e14327
	v_lshlrev_b32_e32 v0, 4, v0
	s_mov_b32 s0, 0x36b3c0b5
	s_mov_b32 s14, 0xe976ee23
	;; [unrolled: 1-line block ×4, first 2 shown]
	s_clause 0x5
	global_load_dwordx4 v[16:19], v0, s[8:9]
	global_load_dwordx4 v[12:15], v0, s[8:9] offset:16
	global_load_dwordx4 v[8:11], v0, s[8:9] offset:32
	;; [unrolled: 1-line block ×5, first 2 shown]
	ds_read_b128 v[4:7], v106
	ds_read_b128 v[0:3], v110 offset:272
	ds_read_b128 v[64:67], v110 offset:544
	;; [unrolled: 1-line block ×13, first 2 shown]
	s_mov_b32 s15, 0xbfe11646
	s_mov_b32 s4, 0x429ad128
	s_mov_b32 s5, 0x3febfeb5
	s_mov_b32 s6, 0xaaaaaaaa
	s_mov_b32 s16, 0x5476071b
	s_mov_b32 s20, 0xb247c609
	s_mov_b32 s7, 0xbff2aaaa
	s_mov_b32 s17, 0x3fe77f67
	s_mov_b32 s13, 0xbfe77f67
	s_mov_b32 s21, 0x3fd5d0dc
	s_mov_b32 s12, s16
	s_mov_b32 s23, 0xbfd5d0dc
	s_mov_b32 s22, s20
	s_mov_b32 s18, 0x37c3f68c
	s_mov_b32 s19, 0x3fdc38aa
	v_mov_b32_e32 v81, 0
	s_waitcnt vmcnt(0) lgkmcnt(0)
	s_barrier
	buffer_gl0_inv
	v_mul_f64 v[84:85], v[66:67], v[18:19]
	v_mul_f64 v[86:87], v[64:65], v[18:19]
	;; [unrolled: 1-line block ×24, first 2 shown]
	v_fma_f64 v[64:65], v[64:65], v[16:17], -v[84:85]
	v_fma_f64 v[66:67], v[66:67], v[16:17], v[86:87]
	v_fma_f64 v[68:69], v[68:69], v[12:13], -v[88:89]
	v_fma_f64 v[70:71], v[70:71], v[12:13], v[90:91]
	;; [unrolled: 2-line block ×12, first 2 shown]
	v_add_f64 v[22:23], v[64:65], v[76:77]
	v_add_f64 v[32:33], v[66:67], v[78:79]
	v_add_f64 v[34:35], v[68:69], v[72:73]
	v_add_f64 v[36:37], v[70:71], v[74:75]
	v_add_f64 v[48:49], v[68:69], -v[72:73]
	v_add_f64 v[50:51], v[70:71], -v[74:75]
	v_add_f64 v[42:43], v[56:57], v[60:61]
	v_add_f64 v[46:47], v[58:59], v[62:63]
	v_add_f64 v[52:53], v[60:61], -v[56:57]
	v_add_f64 v[54:55], v[62:63], -v[58:59]
	v_add_f64 v[56:57], v[44:45], v[18:19]
	v_add_f64 v[58:59], v[16:17], v[24:25]
	;; [unrolled: 4-line block ×4, first 2 shown]
	v_add_f64 v[10:11], v[10:11], -v[30:31]
	v_add_f64 v[8:9], v[20:21], -v[8:9]
	;; [unrolled: 1-line block ×4, first 2 shown]
	v_add_f64 v[20:21], v[34:35], v[22:23]
	v_add_f64 v[30:31], v[36:37], v[32:33]
	v_add_f64 v[60:61], v[34:35], -v[22:23]
	v_add_f64 v[62:63], v[36:37], -v[32:33]
	;; [unrolled: 1-line block ×6, first 2 shown]
	v_add_f64 v[64:65], v[52:53], v[48:49]
	v_add_f64 v[66:67], v[54:55], v[50:51]
	v_add_f64 v[68:69], v[52:53], -v[48:49]
	v_add_f64 v[70:71], v[54:55], -v[50:51]
	v_add_f64 v[72:73], v[24:25], v[56:57]
	v_add_f64 v[74:75], v[44:45], v[58:59]
	v_add_f64 v[76:77], v[24:25], -v[56:57]
	v_add_f64 v[78:79], v[44:45], -v[58:59]
	;; [unrolled: 1-line block ×8, first 2 shown]
	v_add_f64 v[20:21], v[42:43], v[20:21]
	v_add_f64 v[30:31], v[46:47], v[30:31]
	;; [unrolled: 1-line block ×4, first 2 shown]
	v_add_f64 v[88:89], v[10:11], -v[14:15]
	v_add_f64 v[90:91], v[8:9], -v[12:13]
	;; [unrolled: 1-line block ×6, first 2 shown]
	v_add_f64 v[38:39], v[64:65], v[38:39]
	v_add_f64 v[40:41], v[66:67], v[40:41]
	;; [unrolled: 1-line block ×4, first 2 shown]
	v_mul_f64 v[22:23], v[22:23], s[10:11]
	v_mul_f64 v[32:33], v[32:33], s[10:11]
	;; [unrolled: 1-line block ×8, first 2 shown]
	v_add_f64 v[4:5], v[4:5], v[20:21]
	v_add_f64 v[6:7], v[6:7], v[30:31]
	v_add_f64 v[10:11], v[18:19], -v[10:11]
	v_add_f64 v[8:9], v[16:17], -v[8:9]
	v_add_f64 v[18:19], v[84:85], v[18:19]
	v_add_f64 v[16:17], v[86:87], v[16:17]
	v_mul_f64 v[56:57], v[56:57], s[10:11]
	v_mul_f64 v[58:59], v[58:59], s[10:11]
	;; [unrolled: 1-line block ×6, first 2 shown]
	v_add_f64 v[0:1], v[0:1], v[26:27]
	v_add_f64 v[2:3], v[2:3], v[28:29]
	v_mul_f64 v[72:73], v[24:25], s[0:1]
	v_mul_f64 v[74:75], v[44:45], s[0:1]
	v_fma_f64 v[34:35], v[34:35], s[0:1], v[22:23]
	v_fma_f64 v[36:37], v[36:37], s[0:1], v[32:33]
	v_fma_f64 v[42:43], v[60:61], s[16:17], -v[42:43]
	v_fma_f64 v[46:47], v[62:63], s[16:17], -v[46:47]
	;; [unrolled: 1-line block ×4, first 2 shown]
	v_fma_f64 v[60:61], v[52:53], s[20:21], v[64:65]
	v_fma_f64 v[62:63], v[54:55], s[20:21], v[66:67]
	;; [unrolled: 1-line block ×4, first 2 shown]
	v_fma_f64 v[48:49], v[48:49], s[4:5], -v[64:65]
	v_fma_f64 v[50:51], v[50:51], s[4:5], -v[66:67]
	;; [unrolled: 1-line block ×4, first 2 shown]
	v_fma_f64 v[24:25], v[24:25], s[0:1], v[56:57]
	v_fma_f64 v[44:45], v[44:45], s[0:1], v[58:59]
	;; [unrolled: 1-line block ×6, first 2 shown]
	v_fma_f64 v[10:11], v[10:11], s[22:23], -v[88:89]
	v_fma_f64 v[8:9], v[8:9], s[22:23], -v[90:91]
	;; [unrolled: 1-line block ×8, first 2 shown]
	v_fma_f64 v[60:61], v[38:39], s[18:19], v[60:61]
	v_fma_f64 v[62:63], v[40:41], s[18:19], v[62:63]
	v_add_f64 v[34:35], v[34:35], v[20:21]
	v_add_f64 v[36:37], v[36:37], v[30:31]
	v_fma_f64 v[48:49], v[38:39], s[18:19], v[48:49]
	v_fma_f64 v[50:51], v[40:41], s[18:19], v[50:51]
	;; [unrolled: 1-line block ×4, first 2 shown]
	v_add_f64 v[52:53], v[22:23], v[20:21]
	v_add_f64 v[32:33], v[32:33], v[30:31]
	;; [unrolled: 1-line block ×4, first 2 shown]
	v_fma_f64 v[68:69], v[18:19], s[18:19], v[68:69]
	v_fma_f64 v[54:55], v[16:17], s[18:19], v[70:71]
	v_add_f64 v[76:77], v[24:25], v[26:27]
	v_add_f64 v[78:79], v[44:45], v[28:29]
	v_fma_f64 v[72:73], v[18:19], s[18:19], v[10:11]
	v_fma_f64 v[74:75], v[16:17], s[18:19], v[8:9]
	v_add_f64 v[56:57], v[56:57], v[26:27]
	v_add_f64 v[58:59], v[58:59], v[28:29]
	;; [unrolled: 4-line block ×3, first 2 shown]
	v_add_f64 v[10:11], v[62:63], v[34:35]
	v_add_f64 v[12:13], v[36:37], -v[60:61]
	v_lshlrev_b64 v[8:9], 4, v[80:81]
	s_add_u32 s1, s8, 0xdd0
	s_addc_u32 s4, s9, 0
	s_mov_b32 s5, exec_lo
	v_add_f64 v[14:15], v[40:41], v[52:53]
	v_add_f64 v[16:17], v[32:33], -v[38:39]
	v_add_f64 v[18:19], v[22:23], -v[50:51]
	v_add_f64 v[20:21], v[48:49], v[30:31]
	v_add_f64 v[22:23], v[50:51], v[22:23]
	v_add_f64 v[24:25], v[30:31], -v[48:49]
	v_add_f64 v[26:27], v[52:53], -v[40:41]
	v_add_f64 v[28:29], v[38:39], v[32:33]
	v_add_f64 v[30:31], v[34:35], -v[62:63]
	v_add_f64 v[32:33], v[60:61], v[36:37]
	v_add_f64 v[34:35], v[54:55], v[76:77]
	v_add_f64 v[36:37], v[78:79], -v[68:69]
	v_add_f64 v[38:39], v[74:75], v[56:57]
	v_add_f64 v[40:41], v[58:59], -v[72:73]
	v_add_f64 v[42:43], v[64:65], -v[46:47]
	v_add_f64 v[44:45], v[70:71], v[66:67]
	v_add_f64 v[46:47], v[46:47], v[64:65]
	v_add_f64 v[48:49], v[66:67], -v[70:71]
	v_add_f64 v[50:51], v[56:57], -v[74:75]
	v_add_f64 v[52:53], v[72:73], v[58:59]
	v_add_f64 v[54:55], v[76:77], -v[54:55]
	v_add_f64 v[56:57], v[68:69], v[78:79]
	v_add_co_u32 v58, s0, s8, v8
	v_add_co_ci_u32_e64 v59, s0, s9, v9, s0
	ds_write_b128 v110, v[4:7]
	ds_write_b128 v110, v[0:3] offset:1904
	ds_write_b128 v110, v[10:13] offset:272
	;; [unrolled: 1-line block ×13, first 2 shown]
	v_add_co_u32 v60, s0, 0x800, v58
	v_add_co_ci_u32_e64 v61, s0, 0, v59, s0
	v_add_co_u32 v26, s0, 0x660, v58
	s_waitcnt lgkmcnt(0)
	s_barrier
	buffer_gl0_inv
	s_clause 0x3
	global_load_dwordx4 v[0:3], v[58:59], off offset:1632
	global_load_dwordx4 v[4:7], v[58:59], off offset:1904
	;; [unrolled: 1-line block ×4, first 2 shown]
	v_add_co_ci_u32_e64 v27, s0, 0, v59, s0
	s_clause 0x2
	global_load_dwordx4 v[18:21], v[60:61], off offset:672
	global_load_dwordx4 v[22:25], v[60:61], off offset:944
	;; [unrolled: 1-line block ×3, first 2 shown]
	ds_read_b128 v[30:33], v110 offset:1904
	ds_read_b128 v[34:37], v110 offset:2176
	;; [unrolled: 1-line block ×8, first 2 shown]
	ds_read_b128 v[62:65], v106
	ds_read_b128 v[66:69], v110 offset:272
	ds_read_b128 v[70:73], v110 offset:544
	;; [unrolled: 1-line block ×5, first 2 shown]
	s_waitcnt vmcnt(0) lgkmcnt(0)
	s_barrier
	buffer_gl0_inv
	v_mul_f64 v[78:79], v[32:33], v[2:3]
	v_mul_f64 v[2:3], v[30:31], v[2:3]
	;; [unrolled: 1-line block ×14, first 2 shown]
	v_fma_f64 v[30:31], v[30:31], v[0:1], -v[78:79]
	v_fma_f64 v[2:3], v[32:33], v[0:1], v[2:3]
	v_fma_f64 v[32:33], v[34:35], v[4:5], -v[92:93]
	v_fma_f64 v[6:7], v[36:37], v[4:5], v[6:7]
	;; [unrolled: 2-line block ×7, first 2 shown]
	v_add_f64 v[0:1], v[62:63], -v[30:31]
	v_add_f64 v[2:3], v[64:65], -v[2:3]
	;; [unrolled: 1-line block ×14, first 2 shown]
	v_fma_f64 v[30:31], v[62:63], 2.0, -v[0:1]
	v_fma_f64 v[32:33], v[64:65], 2.0, -v[2:3]
	;; [unrolled: 1-line block ×14, first 2 shown]
	v_lshl_add_u32 v58, v109, 4, v111
	ds_write_b128 v110, v[0:3] offset:1904
	ds_write_b128 v58, v[4:7] offset:2176
	;; [unrolled: 1-line block ×7, first 2 shown]
	ds_write_b128 v110, v[30:33]
	ds_write_b128 v110, v[34:37] offset:272
	ds_write_b128 v110, v[38:41] offset:544
	ds_write_b128 v110, v[42:45] offset:816
	ds_write_b128 v110, v[46:49] offset:1088
	ds_write_b128 v110, v[50:53] offset:1360
	ds_write_b128 v110, v[54:57] offset:1632
	s_waitcnt lgkmcnt(0)
	s_barrier
	buffer_gl0_inv
	ds_read_b128 v[4:7], v106
	v_sub_nc_u32_e32 v14, v108, v107
                                        ; implicit-def: $vgpr0_vgpr1
                                        ; implicit-def: $vgpr10_vgpr11
                                        ; implicit-def: $vgpr12_vgpr13
	v_cmpx_ne_u32_e32 0, v80
	s_xor_b32 s5, exec_lo, s5
	s_cbranch_execz .LBB0_14
; %bb.13:
	v_add_co_u32 v0, s0, s1, v8
	v_add_co_ci_u32_e64 v1, s0, s4, v9, s0
                                        ; implicit-def: $vgpr108
	global_load_dwordx4 v[15:18], v[0:1], off
	ds_read_b128 v[0:3], v14 offset:3808
	s_waitcnt lgkmcnt(0)
	v_add_f64 v[10:11], v[4:5], -v[0:1]
	v_add_f64 v[12:13], v[6:7], v[2:3]
	v_add_f64 v[2:3], v[6:7], -v[2:3]
	v_add_f64 v[0:1], v[4:5], v[0:1]
	v_mul_f64 v[6:7], v[10:11], 0.5
	v_mul_f64 v[4:5], v[12:13], 0.5
	;; [unrolled: 1-line block ×3, first 2 shown]
	s_waitcnt vmcnt(0)
	v_mul_f64 v[10:11], v[6:7], v[17:18]
	v_fma_f64 v[12:13], v[4:5], v[17:18], v[2:3]
	v_fma_f64 v[2:3], v[4:5], v[17:18], -v[2:3]
	v_fma_f64 v[19:20], v[0:1], 0.5, v[10:11]
	v_fma_f64 v[0:1], v[0:1], 0.5, -v[10:11]
	v_fma_f64 v[12:13], -v[15:16], v[6:7], v[12:13]
	v_fma_f64 v[2:3], -v[15:16], v[6:7], v[2:3]
	v_fma_f64 v[10:11], v[4:5], v[15:16], v[19:20]
	v_fma_f64 v[0:1], -v[4:5], v[15:16], v[0:1]
                                        ; implicit-def: $vgpr4_vgpr5
.LBB0_14:
	s_andn2_saveexec_b32 s0, s5
	s_cbranch_execz .LBB0_16
; %bb.15:
	ds_read_b64 v[15:16], v108 offset:1912
	s_waitcnt lgkmcnt(1)
	v_add_f64 v[10:11], v[4:5], v[6:7]
	v_add_f64 v[0:1], v[4:5], -v[6:7]
	v_mov_b32_e32 v12, 0
	v_mov_b32_e32 v13, 0
	;; [unrolled: 1-line block ×4, first 2 shown]
	s_waitcnt lgkmcnt(0)
	v_xor_b32_e32 v16, 0x80000000, v16
	ds_write_b64 v108, v[15:16] offset:1912
.LBB0_16:
	s_or_b32 exec_lo, exec_lo, s0
	v_add_co_u32 v23, s0, s1, v8
	v_add_co_ci_u32_e64 v24, s0, s4, v9, s0
	s_waitcnt lgkmcnt(0)
	s_clause 0x1
	global_load_dwordx4 v[4:7], v[23:24], off offset:272
	global_load_dwordx4 v[15:18], v[23:24], off offset:544
	ds_write2_b64 v106, v[10:11], v[12:13] offset1:1
	ds_write_b128 v14, v[0:3] offset:3808
	ds_read_b128 v[0:3], v106 offset:272
	ds_read_b128 v[10:13], v14 offset:3536
	global_load_dwordx4 v[19:22], v[23:24], off offset:816
	s_waitcnt lgkmcnt(0)
	v_add_f64 v[25:26], v[0:1], -v[10:11]
	v_add_f64 v[27:28], v[2:3], v[12:13]
	v_add_f64 v[2:3], v[2:3], -v[12:13]
	v_add_f64 v[0:1], v[0:1], v[10:11]
	v_mul_f64 v[12:13], v[25:26], 0.5
	v_mul_f64 v[25:26], v[27:28], 0.5
	v_mul_f64 v[2:3], v[2:3], 0.5
	s_waitcnt vmcnt(2)
	v_mul_f64 v[10:11], v[12:13], v[6:7]
	v_fma_f64 v[27:28], v[25:26], v[6:7], v[2:3]
	v_fma_f64 v[2:3], v[25:26], v[6:7], -v[2:3]
	v_fma_f64 v[6:7], v[0:1], 0.5, v[10:11]
	v_fma_f64 v[0:1], v[0:1], 0.5, -v[10:11]
	v_fma_f64 v[10:11], -v[4:5], v[12:13], v[27:28]
	v_fma_f64 v[2:3], -v[4:5], v[12:13], v[2:3]
	v_fma_f64 v[6:7], v[25:26], v[4:5], v[6:7]
	v_fma_f64 v[0:1], -v[25:26], v[4:5], v[0:1]
	ds_write2_b64 v106, v[6:7], v[10:11] offset0:34 offset1:35
	ds_write_b128 v14, v[0:3] offset:3536
	ds_read_b128 v[0:3], v106 offset:544
	ds_read_b128 v[4:7], v14 offset:3264
	global_load_dwordx4 v[10:13], v[23:24], off offset:1088
	s_waitcnt lgkmcnt(0)
	v_add_f64 v[25:26], v[0:1], -v[4:5]
	v_add_f64 v[27:28], v[2:3], v[6:7]
	v_add_f64 v[2:3], v[2:3], -v[6:7]
	v_add_f64 v[0:1], v[0:1], v[4:5]
	v_mul_f64 v[6:7], v[25:26], 0.5
	v_mul_f64 v[25:26], v[27:28], 0.5
	v_mul_f64 v[2:3], v[2:3], 0.5
	s_waitcnt vmcnt(2)
	v_mul_f64 v[4:5], v[6:7], v[17:18]
	v_fma_f64 v[27:28], v[25:26], v[17:18], v[2:3]
	v_fma_f64 v[2:3], v[25:26], v[17:18], -v[2:3]
	v_fma_f64 v[17:18], v[0:1], 0.5, v[4:5]
	v_fma_f64 v[0:1], v[0:1], 0.5, -v[4:5]
	v_fma_f64 v[4:5], -v[15:16], v[6:7], v[27:28]
	v_fma_f64 v[2:3], -v[15:16], v[6:7], v[2:3]
	v_fma_f64 v[6:7], v[25:26], v[15:16], v[17:18]
	v_fma_f64 v[0:1], -v[25:26], v[15:16], v[0:1]
	ds_write2_b64 v106, v[6:7], v[4:5] offset0:68 offset1:69
	ds_write_b128 v14, v[0:3] offset:3264
	ds_read_b128 v[0:3], v106 offset:816
	ds_read_b128 v[4:7], v14 offset:2992
	global_load_dwordx4 v[15:18], v[23:24], off offset:1360
	s_waitcnt lgkmcnt(0)
	v_add_f64 v[25:26], v[0:1], -v[4:5]
	v_add_f64 v[27:28], v[2:3], v[6:7]
	v_add_f64 v[2:3], v[2:3], -v[6:7]
	v_add_f64 v[0:1], v[0:1], v[4:5]
	v_mul_f64 v[6:7], v[25:26], 0.5
	v_mul_f64 v[25:26], v[27:28], 0.5
	v_mul_f64 v[2:3], v[2:3], 0.5
	s_waitcnt vmcnt(2)
	v_mul_f64 v[4:5], v[6:7], v[21:22]
	v_fma_f64 v[27:28], v[25:26], v[21:22], v[2:3]
	v_fma_f64 v[2:3], v[25:26], v[21:22], -v[2:3]
	v_fma_f64 v[21:22], v[0:1], 0.5, v[4:5]
	v_fma_f64 v[0:1], v[0:1], 0.5, -v[4:5]
	v_fma_f64 v[4:5], -v[19:20], v[6:7], v[27:28]
	v_fma_f64 v[2:3], -v[19:20], v[6:7], v[2:3]
	v_fma_f64 v[6:7], v[25:26], v[19:20], v[21:22]
	v_fma_f64 v[0:1], -v[25:26], v[19:20], v[0:1]
	ds_write2_b64 v106, v[6:7], v[4:5] offset0:102 offset1:103
	ds_write_b128 v14, v[0:3] offset:2992
	ds_read_b128 v[0:3], v106 offset:1088
	ds_read_b128 v[4:7], v14 offset:2720
	global_load_dwordx4 v[19:22], v[23:24], off offset:1632
	s_waitcnt lgkmcnt(0)
	v_add_f64 v[23:24], v[0:1], -v[4:5]
	v_add_f64 v[25:26], v[2:3], v[6:7]
	v_add_f64 v[2:3], v[2:3], -v[6:7]
	v_add_f64 v[0:1], v[0:1], v[4:5]
	v_mul_f64 v[6:7], v[23:24], 0.5
	v_mul_f64 v[23:24], v[25:26], 0.5
	v_mul_f64 v[2:3], v[2:3], 0.5
	s_waitcnt vmcnt(2)
	v_mul_f64 v[4:5], v[6:7], v[12:13]
	v_fma_f64 v[25:26], v[23:24], v[12:13], v[2:3]
	v_fma_f64 v[2:3], v[23:24], v[12:13], -v[2:3]
	v_fma_f64 v[12:13], v[0:1], 0.5, v[4:5]
	v_fma_f64 v[0:1], v[0:1], 0.5, -v[4:5]
	v_fma_f64 v[4:5], -v[10:11], v[6:7], v[25:26]
	v_fma_f64 v[2:3], -v[10:11], v[6:7], v[2:3]
	v_fma_f64 v[6:7], v[23:24], v[10:11], v[12:13]
	v_fma_f64 v[0:1], -v[23:24], v[10:11], v[0:1]
	ds_write2_b64 v106, v[6:7], v[4:5] offset0:136 offset1:137
	ds_write_b128 v14, v[0:3] offset:2720
	ds_read_b128 v[0:3], v106 offset:1360
	ds_read_b128 v[4:7], v14 offset:2448
	s_waitcnt lgkmcnt(0)
	v_add_f64 v[10:11], v[0:1], -v[4:5]
	v_add_f64 v[12:13], v[2:3], v[6:7]
	v_add_f64 v[2:3], v[2:3], -v[6:7]
	v_add_f64 v[0:1], v[0:1], v[4:5]
	v_mul_f64 v[6:7], v[10:11], 0.5
	v_mul_f64 v[10:11], v[12:13], 0.5
	;; [unrolled: 1-line block ×3, first 2 shown]
	s_waitcnt vmcnt(1)
	v_mul_f64 v[4:5], v[6:7], v[17:18]
	v_fma_f64 v[12:13], v[10:11], v[17:18], v[2:3]
	v_fma_f64 v[2:3], v[10:11], v[17:18], -v[2:3]
	v_fma_f64 v[17:18], v[0:1], 0.5, v[4:5]
	v_fma_f64 v[0:1], v[0:1], 0.5, -v[4:5]
	v_fma_f64 v[4:5], -v[15:16], v[6:7], v[12:13]
	v_fma_f64 v[2:3], -v[15:16], v[6:7], v[2:3]
	v_fma_f64 v[6:7], v[10:11], v[15:16], v[17:18]
	v_fma_f64 v[0:1], -v[10:11], v[15:16], v[0:1]
	ds_write2_b64 v106, v[6:7], v[4:5] offset0:170 offset1:171
	ds_write_b128 v14, v[0:3] offset:2448
	ds_read_b128 v[0:3], v106 offset:1632
	ds_read_b128 v[4:7], v14 offset:2176
	s_waitcnt lgkmcnt(0)
	v_add_f64 v[10:11], v[0:1], -v[4:5]
	v_add_f64 v[12:13], v[2:3], v[6:7]
	v_add_f64 v[2:3], v[2:3], -v[6:7]
	v_add_f64 v[0:1], v[0:1], v[4:5]
	v_mul_f64 v[6:7], v[10:11], 0.5
	v_mul_f64 v[10:11], v[12:13], 0.5
	v_mul_f64 v[2:3], v[2:3], 0.5
	s_waitcnt vmcnt(0)
	v_mul_f64 v[4:5], v[6:7], v[21:22]
	v_fma_f64 v[12:13], v[10:11], v[21:22], v[2:3]
	v_fma_f64 v[2:3], v[10:11], v[21:22], -v[2:3]
	v_fma_f64 v[15:16], v[0:1], 0.5, v[4:5]
	v_fma_f64 v[0:1], v[0:1], 0.5, -v[4:5]
	v_fma_f64 v[4:5], -v[19:20], v[6:7], v[12:13]
	v_fma_f64 v[2:3], -v[19:20], v[6:7], v[2:3]
	v_fma_f64 v[6:7], v[10:11], v[19:20], v[15:16]
	v_fma_f64 v[0:1], -v[10:11], v[19:20], v[0:1]
	ds_write2_b64 v106, v[6:7], v[4:5] offset0:204 offset1:205
	ds_write_b128 v14, v[0:3] offset:2176
	s_waitcnt lgkmcnt(0)
	s_barrier
	buffer_gl0_inv
	s_and_saveexec_b32 s0, vcc_lo
	s_cbranch_execz .LBB0_19
; %bb.17:
	ds_read_b128 v[2:5], v106
	ds_read_b128 v[10:13], v106 offset:272
	ds_read_b128 v[14:17], v106 offset:544
	;; [unrolled: 1-line block ×3, first 2 shown]
	v_add_co_u32 v0, vcc_lo, s2, v82
	v_add_co_ci_u32_e32 v1, vcc_lo, s3, v83, vcc_lo
	ds_read_b128 v[22:25], v106 offset:1088
	ds_read_b128 v[26:29], v106 offset:1360
	;; [unrolled: 1-line block ×6, first 2 shown]
	v_add_co_u32 v58, vcc_lo, v0, v8
	v_add_co_ci_u32_e32 v59, vcc_lo, v1, v9, vcc_lo
	ds_read_b128 v[6:9], v106 offset:2720
	ds_read_b128 v[46:49], v106 offset:2992
	;; [unrolled: 1-line block ×4, first 2 shown]
	s_waitcnt lgkmcnt(13)
	global_store_dwordx4 v[58:59], v[2:5], off
	s_waitcnt lgkmcnt(12)
	global_store_dwordx4 v[58:59], v[10:13], off offset:272
	s_waitcnt lgkmcnt(11)
	global_store_dwordx4 v[58:59], v[14:17], off offset:544
	;; [unrolled: 2-line block ×3, first 2 shown]
	v_add_co_u32 v2, vcc_lo, 0x800, v58
	v_add_co_ci_u32_e32 v3, vcc_lo, 0, v59, vcc_lo
	v_cmp_eq_u32_e32 vcc_lo, 16, v80
	s_waitcnt lgkmcnt(9)
	global_store_dwordx4 v[58:59], v[22:25], off offset:1088
	s_waitcnt lgkmcnt(8)
	global_store_dwordx4 v[58:59], v[26:29], off offset:1360
	;; [unrolled: 2-line block ×10, first 2 shown]
	s_and_b32 exec_lo, exec_lo, vcc_lo
	s_cbranch_execz .LBB0_19
; %bb.18:
	ds_read_b128 v[2:5], v106 offset:3552
	v_add_co_u32 v0, vcc_lo, 0x800, v0
	v_add_co_ci_u32_e32 v1, vcc_lo, 0, v1, vcc_lo
	s_waitcnt lgkmcnt(0)
	global_store_dwordx4 v[0:1], v[2:5], off offset:1760
.LBB0_19:
	s_endpgm
	.section	.rodata,"a",@progbits
	.p2align	6, 0x0
	.amdhsa_kernel fft_rtc_fwd_len238_factors_17_7_2_wgs_51_tpt_17_halfLds_dp_ip_CI_unitstride_sbrr_R2C_dirReg
		.amdhsa_group_segment_fixed_size 0
		.amdhsa_private_segment_fixed_size 0
		.amdhsa_kernarg_size 88
		.amdhsa_user_sgpr_count 6
		.amdhsa_user_sgpr_private_segment_buffer 1
		.amdhsa_user_sgpr_dispatch_ptr 0
		.amdhsa_user_sgpr_queue_ptr 0
		.amdhsa_user_sgpr_kernarg_segment_ptr 1
		.amdhsa_user_sgpr_dispatch_id 0
		.amdhsa_user_sgpr_flat_scratch_init 0
		.amdhsa_user_sgpr_private_segment_size 0
		.amdhsa_wavefront_size32 1
		.amdhsa_uses_dynamic_stack 0
		.amdhsa_system_sgpr_private_segment_wavefront_offset 0
		.amdhsa_system_sgpr_workgroup_id_x 1
		.amdhsa_system_sgpr_workgroup_id_y 0
		.amdhsa_system_sgpr_workgroup_id_z 0
		.amdhsa_system_sgpr_workgroup_info 0
		.amdhsa_system_vgpr_workitem_id 0
		.amdhsa_next_free_vgpr 167
		.amdhsa_next_free_sgpr 54
		.amdhsa_reserve_vcc 1
		.amdhsa_reserve_flat_scratch 0
		.amdhsa_float_round_mode_32 0
		.amdhsa_float_round_mode_16_64 0
		.amdhsa_float_denorm_mode_32 3
		.amdhsa_float_denorm_mode_16_64 3
		.amdhsa_dx10_clamp 1
		.amdhsa_ieee_mode 1
		.amdhsa_fp16_overflow 0
		.amdhsa_workgroup_processor_mode 1
		.amdhsa_memory_ordered 1
		.amdhsa_forward_progress 0
		.amdhsa_shared_vgpr_count 0
		.amdhsa_exception_fp_ieee_invalid_op 0
		.amdhsa_exception_fp_denorm_src 0
		.amdhsa_exception_fp_ieee_div_zero 0
		.amdhsa_exception_fp_ieee_overflow 0
		.amdhsa_exception_fp_ieee_underflow 0
		.amdhsa_exception_fp_ieee_inexact 0
		.amdhsa_exception_int_div_zero 0
	.end_amdhsa_kernel
	.text
.Lfunc_end0:
	.size	fft_rtc_fwd_len238_factors_17_7_2_wgs_51_tpt_17_halfLds_dp_ip_CI_unitstride_sbrr_R2C_dirReg, .Lfunc_end0-fft_rtc_fwd_len238_factors_17_7_2_wgs_51_tpt_17_halfLds_dp_ip_CI_unitstride_sbrr_R2C_dirReg
                                        ; -- End function
	.section	.AMDGPU.csdata,"",@progbits
; Kernel info:
; codeLenInByte = 12668
; NumSgprs: 56
; NumVgprs: 167
; ScratchSize: 0
; MemoryBound: 0
; FloatMode: 240
; IeeeMode: 1
; LDSByteSize: 0 bytes/workgroup (compile time only)
; SGPRBlocks: 6
; VGPRBlocks: 20
; NumSGPRsForWavesPerEU: 56
; NumVGPRsForWavesPerEU: 167
; Occupancy: 5
; WaveLimiterHint : 1
; COMPUTE_PGM_RSRC2:SCRATCH_EN: 0
; COMPUTE_PGM_RSRC2:USER_SGPR: 6
; COMPUTE_PGM_RSRC2:TRAP_HANDLER: 0
; COMPUTE_PGM_RSRC2:TGID_X_EN: 1
; COMPUTE_PGM_RSRC2:TGID_Y_EN: 0
; COMPUTE_PGM_RSRC2:TGID_Z_EN: 0
; COMPUTE_PGM_RSRC2:TIDIG_COMP_CNT: 0
	.text
	.p2alignl 6, 3214868480
	.fill 48, 4, 3214868480
	.type	__hip_cuid_c03ede8edbacdfad,@object ; @__hip_cuid_c03ede8edbacdfad
	.section	.bss,"aw",@nobits
	.globl	__hip_cuid_c03ede8edbacdfad
__hip_cuid_c03ede8edbacdfad:
	.byte	0                               ; 0x0
	.size	__hip_cuid_c03ede8edbacdfad, 1

	.ident	"AMD clang version 19.0.0git (https://github.com/RadeonOpenCompute/llvm-project roc-6.4.0 25133 c7fe45cf4b819c5991fe208aaa96edf142730f1d)"
	.section	".note.GNU-stack","",@progbits
	.addrsig
	.addrsig_sym __hip_cuid_c03ede8edbacdfad
	.amdgpu_metadata
---
amdhsa.kernels:
  - .args:
      - .actual_access:  read_only
        .address_space:  global
        .offset:         0
        .size:           8
        .value_kind:     global_buffer
      - .offset:         8
        .size:           8
        .value_kind:     by_value
      - .actual_access:  read_only
        .address_space:  global
        .offset:         16
        .size:           8
        .value_kind:     global_buffer
      - .actual_access:  read_only
        .address_space:  global
        .offset:         24
        .size:           8
        .value_kind:     global_buffer
      - .offset:         32
        .size:           8
        .value_kind:     by_value
      - .actual_access:  read_only
        .address_space:  global
        .offset:         40
        .size:           8
        .value_kind:     global_buffer
      - .actual_access:  read_only
        .address_space:  global
        .offset:         48
        .size:           8
        .value_kind:     global_buffer
      - .offset:         56
        .size:           4
        .value_kind:     by_value
      - .actual_access:  read_only
        .address_space:  global
        .offset:         64
        .size:           8
        .value_kind:     global_buffer
      - .actual_access:  read_only
        .address_space:  global
        .offset:         72
        .size:           8
        .value_kind:     global_buffer
      - .address_space:  global
        .offset:         80
        .size:           8
        .value_kind:     global_buffer
    .group_segment_fixed_size: 0
    .kernarg_segment_align: 8
    .kernarg_segment_size: 88
    .language:       OpenCL C
    .language_version:
      - 2
      - 0
    .max_flat_workgroup_size: 51
    .name:           fft_rtc_fwd_len238_factors_17_7_2_wgs_51_tpt_17_halfLds_dp_ip_CI_unitstride_sbrr_R2C_dirReg
    .private_segment_fixed_size: 0
    .sgpr_count:     56
    .sgpr_spill_count: 0
    .symbol:         fft_rtc_fwd_len238_factors_17_7_2_wgs_51_tpt_17_halfLds_dp_ip_CI_unitstride_sbrr_R2C_dirReg.kd
    .uniform_work_group_size: 1
    .uses_dynamic_stack: false
    .vgpr_count:     167
    .vgpr_spill_count: 0
    .wavefront_size: 32
    .workgroup_processor_mode: 1
amdhsa.target:   amdgcn-amd-amdhsa--gfx1030
amdhsa.version:
  - 1
  - 2
...

	.end_amdgpu_metadata
